;; amdgpu-corpus repo=ROCm/rocFFT kind=compiled arch=gfx1201 opt=O3
	.text
	.amdgcn_target "amdgcn-amd-amdhsa--gfx1201"
	.amdhsa_code_object_version 6
	.protected	fft_rtc_back_len1350_factors_5_10_3_3_3_wgs_135_tpt_135_halfLds_sp_op_CI_CI_sbrr_dirReg ; -- Begin function fft_rtc_back_len1350_factors_5_10_3_3_3_wgs_135_tpt_135_halfLds_sp_op_CI_CI_sbrr_dirReg
	.globl	fft_rtc_back_len1350_factors_5_10_3_3_3_wgs_135_tpt_135_halfLds_sp_op_CI_CI_sbrr_dirReg
	.p2align	8
	.type	fft_rtc_back_len1350_factors_5_10_3_3_3_wgs_135_tpt_135_halfLds_sp_op_CI_CI_sbrr_dirReg,@function
fft_rtc_back_len1350_factors_5_10_3_3_3_wgs_135_tpt_135_halfLds_sp_op_CI_CI_sbrr_dirReg: ; @fft_rtc_back_len1350_factors_5_10_3_3_3_wgs_135_tpt_135_halfLds_sp_op_CI_CI_sbrr_dirReg
; %bb.0:
	s_clause 0x2
	s_load_b128 s[12:15], s[0:1], 0x18
	s_load_b128 s[4:7], s[0:1], 0x0
	;; [unrolled: 1-line block ×3, first 2 shown]
	v_mul_u32_u24_e32 v1, 0x1e6, v0
	v_mov_b32_e32 v5, 0
	v_mov_b32_e32 v7, 0
	;; [unrolled: 1-line block ×3, first 2 shown]
	s_wait_kmcnt 0x0
	s_load_b64 s[18:19], s[12:13], 0x0
	s_load_b64 s[16:17], s[14:15], 0x0
	v_lshrrev_b32_e32 v1, 16, v1
	v_cmp_lt_u64_e64 s2, s[6:7], 2
	s_delay_alu instid0(VALU_DEP_2) | instskip(NEXT) | instid1(VALU_DEP_2)
	v_dual_mov_b32 v10, v5 :: v_dual_add_nc_u32 v9, ttmp9, v1
	s_and_b32 vcc_lo, exec_lo, s2
	s_cbranch_vccnz .LBB0_8
; %bb.1:
	s_load_b64 s[2:3], s[0:1], 0x10
	v_mov_b32_e32 v7, 0
	v_mov_b32_e32 v8, 0
	s_delay_alu instid0(VALU_DEP_2)
	v_mov_b32_e32 v1, v7
	s_add_nc_u64 s[20:21], s[14:15], 8
	s_add_nc_u64 s[22:23], s[12:13], 8
	s_mov_b64 s[24:25], 1
	v_mov_b32_e32 v2, v8
	s_wait_kmcnt 0x0
	s_add_nc_u64 s[26:27], s[2:3], 8
	s_mov_b32 s3, 0
.LBB0_2:                                ; =>This Inner Loop Header: Depth=1
	s_load_b64 s[28:29], s[26:27], 0x0
                                        ; implicit-def: $vgpr3_vgpr4
	s_mov_b32 s2, exec_lo
	s_wait_kmcnt 0x0
	v_or_b32_e32 v6, s29, v10
	s_delay_alu instid0(VALU_DEP_1)
	v_cmpx_ne_u64_e32 0, v[5:6]
	s_wait_alu 0xfffe
	s_xor_b32 s30, exec_lo, s2
	s_cbranch_execz .LBB0_4
; %bb.3:                                ;   in Loop: Header=BB0_2 Depth=1
	s_cvt_f32_u32 s2, s28
	s_cvt_f32_u32 s31, s29
	s_sub_nc_u64 s[36:37], 0, s[28:29]
	s_wait_alu 0xfffe
	s_delay_alu instid0(SALU_CYCLE_1) | instskip(SKIP_1) | instid1(SALU_CYCLE_2)
	s_fmamk_f32 s2, s31, 0x4f800000, s2
	s_wait_alu 0xfffe
	v_s_rcp_f32 s2, s2
	s_delay_alu instid0(TRANS32_DEP_1) | instskip(SKIP_1) | instid1(SALU_CYCLE_2)
	s_mul_f32 s2, s2, 0x5f7ffffc
	s_wait_alu 0xfffe
	s_mul_f32 s31, s2, 0x2f800000
	s_wait_alu 0xfffe
	s_delay_alu instid0(SALU_CYCLE_2) | instskip(SKIP_1) | instid1(SALU_CYCLE_2)
	s_trunc_f32 s31, s31
	s_wait_alu 0xfffe
	s_fmamk_f32 s2, s31, 0xcf800000, s2
	s_cvt_u32_f32 s35, s31
	s_wait_alu 0xfffe
	s_delay_alu instid0(SALU_CYCLE_1) | instskip(SKIP_1) | instid1(SALU_CYCLE_2)
	s_cvt_u32_f32 s34, s2
	s_wait_alu 0xfffe
	s_mul_u64 s[38:39], s[36:37], s[34:35]
	s_wait_alu 0xfffe
	s_mul_hi_u32 s41, s34, s39
	s_mul_i32 s40, s34, s39
	s_mul_hi_u32 s2, s34, s38
	s_mul_i32 s33, s35, s38
	s_wait_alu 0xfffe
	s_add_nc_u64 s[40:41], s[2:3], s[40:41]
	s_mul_hi_u32 s31, s35, s38
	s_mul_hi_u32 s42, s35, s39
	s_add_co_u32 s2, s40, s33
	s_wait_alu 0xfffe
	s_add_co_ci_u32 s2, s41, s31
	s_mul_i32 s38, s35, s39
	s_add_co_ci_u32 s39, s42, 0
	s_wait_alu 0xfffe
	s_add_nc_u64 s[38:39], s[2:3], s[38:39]
	s_wait_alu 0xfffe
	v_add_co_u32 v3, s2, s34, s38
	s_delay_alu instid0(VALU_DEP_1) | instskip(SKIP_1) | instid1(VALU_DEP_1)
	s_cmp_lg_u32 s2, 0
	s_add_co_ci_u32 s35, s35, s39
	v_readfirstlane_b32 s34, v3
	s_wait_alu 0xfffe
	s_delay_alu instid0(VALU_DEP_1)
	s_mul_u64 s[36:37], s[36:37], s[34:35]
	s_wait_alu 0xfffe
	s_mul_hi_u32 s39, s34, s37
	s_mul_i32 s38, s34, s37
	s_mul_hi_u32 s2, s34, s36
	s_mul_i32 s33, s35, s36
	s_wait_alu 0xfffe
	s_add_nc_u64 s[38:39], s[2:3], s[38:39]
	s_mul_hi_u32 s31, s35, s36
	s_mul_hi_u32 s34, s35, s37
	s_wait_alu 0xfffe
	s_add_co_u32 s2, s38, s33
	s_add_co_ci_u32 s2, s39, s31
	s_mul_i32 s36, s35, s37
	s_add_co_ci_u32 s37, s34, 0
	s_wait_alu 0xfffe
	s_add_nc_u64 s[36:37], s[2:3], s[36:37]
	s_wait_alu 0xfffe
	v_add_co_u32 v6, s2, v3, s36
	s_delay_alu instid0(VALU_DEP_1) | instskip(SKIP_1) | instid1(VALU_DEP_1)
	s_cmp_lg_u32 s2, 0
	s_add_co_ci_u32 s2, s35, s37
	v_mul_hi_u32 v15, v9, v6
	s_wait_alu 0xfffe
	v_mad_co_u64_u32 v[3:4], null, v9, s2, 0
	v_mad_co_u64_u32 v[11:12], null, v10, v6, 0
	;; [unrolled: 1-line block ×3, first 2 shown]
	s_delay_alu instid0(VALU_DEP_3) | instskip(SKIP_1) | instid1(VALU_DEP_4)
	v_add_co_u32 v3, vcc_lo, v15, v3
	s_wait_alu 0xfffd
	v_add_co_ci_u32_e32 v4, vcc_lo, 0, v4, vcc_lo
	s_delay_alu instid0(VALU_DEP_2) | instskip(SKIP_1) | instid1(VALU_DEP_2)
	v_add_co_u32 v3, vcc_lo, v3, v11
	s_wait_alu 0xfffd
	v_add_co_ci_u32_e32 v3, vcc_lo, v4, v12, vcc_lo
	s_wait_alu 0xfffd
	v_add_co_ci_u32_e32 v4, vcc_lo, 0, v14, vcc_lo
	s_delay_alu instid0(VALU_DEP_2) | instskip(SKIP_1) | instid1(VALU_DEP_2)
	v_add_co_u32 v6, vcc_lo, v3, v13
	s_wait_alu 0xfffd
	v_add_co_ci_u32_e32 v11, vcc_lo, 0, v4, vcc_lo
	s_delay_alu instid0(VALU_DEP_2) | instskip(SKIP_1) | instid1(VALU_DEP_3)
	v_mul_lo_u32 v12, s29, v6
	v_mad_co_u64_u32 v[3:4], null, s28, v6, 0
	v_mul_lo_u32 v13, s28, v11
	s_delay_alu instid0(VALU_DEP_2) | instskip(NEXT) | instid1(VALU_DEP_2)
	v_sub_co_u32 v3, vcc_lo, v9, v3
	v_add3_u32 v4, v4, v13, v12
	s_delay_alu instid0(VALU_DEP_1) | instskip(SKIP_1) | instid1(VALU_DEP_1)
	v_sub_nc_u32_e32 v12, v10, v4
	s_wait_alu 0xfffd
	v_subrev_co_ci_u32_e64 v12, s2, s29, v12, vcc_lo
	v_add_co_u32 v13, s2, v6, 2
	s_wait_alu 0xf1ff
	v_add_co_ci_u32_e64 v14, s2, 0, v11, s2
	v_sub_co_u32 v15, s2, v3, s28
	v_sub_co_ci_u32_e32 v4, vcc_lo, v10, v4, vcc_lo
	s_wait_alu 0xf1ff
	v_subrev_co_ci_u32_e64 v12, s2, 0, v12, s2
	s_delay_alu instid0(VALU_DEP_3) | instskip(NEXT) | instid1(VALU_DEP_3)
	v_cmp_le_u32_e32 vcc_lo, s28, v15
	v_cmp_eq_u32_e64 s2, s29, v4
	s_wait_alu 0xfffd
	v_cndmask_b32_e64 v15, 0, -1, vcc_lo
	v_cmp_le_u32_e32 vcc_lo, s29, v12
	s_wait_alu 0xfffd
	v_cndmask_b32_e64 v16, 0, -1, vcc_lo
	v_cmp_le_u32_e32 vcc_lo, s28, v3
	;; [unrolled: 3-line block ×3, first 2 shown]
	s_wait_alu 0xfffd
	v_cndmask_b32_e64 v17, 0, -1, vcc_lo
	v_cmp_eq_u32_e32 vcc_lo, s29, v12
	s_wait_alu 0xf1ff
	s_delay_alu instid0(VALU_DEP_2)
	v_cndmask_b32_e64 v3, v17, v3, s2
	s_wait_alu 0xfffd
	v_cndmask_b32_e32 v12, v16, v15, vcc_lo
	v_add_co_u32 v15, vcc_lo, v6, 1
	s_wait_alu 0xfffd
	v_add_co_ci_u32_e32 v16, vcc_lo, 0, v11, vcc_lo
	s_delay_alu instid0(VALU_DEP_3) | instskip(SKIP_2) | instid1(VALU_DEP_3)
	v_cmp_ne_u32_e32 vcc_lo, 0, v12
	s_wait_alu 0xfffd
	v_cndmask_b32_e32 v12, v15, v13, vcc_lo
	v_cndmask_b32_e32 v4, v16, v14, vcc_lo
	v_cmp_ne_u32_e32 vcc_lo, 0, v3
	s_wait_alu 0xfffd
	s_delay_alu instid0(VALU_DEP_3) | instskip(NEXT) | instid1(VALU_DEP_3)
	v_cndmask_b32_e32 v3, v6, v12, vcc_lo
	v_cndmask_b32_e32 v4, v11, v4, vcc_lo
.LBB0_4:                                ;   in Loop: Header=BB0_2 Depth=1
	s_wait_alu 0xfffe
	s_and_not1_saveexec_b32 s2, s30
	s_cbranch_execz .LBB0_6
; %bb.5:                                ;   in Loop: Header=BB0_2 Depth=1
	v_cvt_f32_u32_e32 v3, s28
	s_sub_co_i32 s30, 0, s28
	s_delay_alu instid0(VALU_DEP_1) | instskip(NEXT) | instid1(TRANS32_DEP_1)
	v_rcp_iflag_f32_e32 v3, v3
	v_mul_f32_e32 v3, 0x4f7ffffe, v3
	s_delay_alu instid0(VALU_DEP_1) | instskip(SKIP_1) | instid1(VALU_DEP_1)
	v_cvt_u32_f32_e32 v3, v3
	s_wait_alu 0xfffe
	v_mul_lo_u32 v4, s30, v3
	s_delay_alu instid0(VALU_DEP_1) | instskip(NEXT) | instid1(VALU_DEP_1)
	v_mul_hi_u32 v4, v3, v4
	v_add_nc_u32_e32 v3, v3, v4
	s_delay_alu instid0(VALU_DEP_1) | instskip(NEXT) | instid1(VALU_DEP_1)
	v_mul_hi_u32 v3, v9, v3
	v_mul_lo_u32 v4, v3, s28
	v_add_nc_u32_e32 v6, 1, v3
	s_delay_alu instid0(VALU_DEP_2) | instskip(NEXT) | instid1(VALU_DEP_1)
	v_sub_nc_u32_e32 v4, v9, v4
	v_subrev_nc_u32_e32 v11, s28, v4
	v_cmp_le_u32_e32 vcc_lo, s28, v4
	s_wait_alu 0xfffd
	s_delay_alu instid0(VALU_DEP_2) | instskip(NEXT) | instid1(VALU_DEP_1)
	v_dual_cndmask_b32 v4, v4, v11 :: v_dual_cndmask_b32 v3, v3, v6
	v_cmp_le_u32_e32 vcc_lo, s28, v4
	s_delay_alu instid0(VALU_DEP_2) | instskip(SKIP_1) | instid1(VALU_DEP_1)
	v_add_nc_u32_e32 v6, 1, v3
	s_wait_alu 0xfffd
	v_dual_mov_b32 v4, v5 :: v_dual_cndmask_b32 v3, v3, v6
.LBB0_6:                                ;   in Loop: Header=BB0_2 Depth=1
	s_wait_alu 0xfffe
	s_or_b32 exec_lo, exec_lo, s2
	s_delay_alu instid0(VALU_DEP_1) | instskip(NEXT) | instid1(VALU_DEP_2)
	v_mul_lo_u32 v6, v4, s28
	v_mul_lo_u32 v13, v3, s29
	s_load_b64 s[30:31], s[22:23], 0x0
	v_mad_co_u64_u32 v[11:12], null, v3, s28, 0
	s_load_b64 s[28:29], s[20:21], 0x0
	s_add_nc_u64 s[24:25], s[24:25], 1
	s_add_nc_u64 s[20:21], s[20:21], 8
	s_wait_alu 0xfffe
	v_cmp_ge_u64_e64 s2, s[24:25], s[6:7]
	s_add_nc_u64 s[22:23], s[22:23], 8
	s_add_nc_u64 s[26:27], s[26:27], 8
	v_add3_u32 v6, v12, v13, v6
	v_sub_co_u32 v9, vcc_lo, v9, v11
	s_wait_alu 0xfffd
	s_delay_alu instid0(VALU_DEP_2) | instskip(SKIP_2) | instid1(VALU_DEP_1)
	v_sub_co_ci_u32_e32 v6, vcc_lo, v10, v6, vcc_lo
	s_and_b32 vcc_lo, exec_lo, s2
	s_wait_kmcnt 0x0
	v_mul_lo_u32 v10, s30, v6
	v_mul_lo_u32 v11, s31, v9
	v_mad_co_u64_u32 v[7:8], null, s30, v9, v[7:8]
	v_mul_lo_u32 v6, s28, v6
	v_mul_lo_u32 v12, s29, v9
	v_mad_co_u64_u32 v[1:2], null, s28, v9, v[1:2]
	s_delay_alu instid0(VALU_DEP_4) | instskip(NEXT) | instid1(VALU_DEP_2)
	v_add3_u32 v8, v11, v8, v10
	v_add3_u32 v2, v12, v2, v6
	s_wait_alu 0xfffe
	s_cbranch_vccnz .LBB0_9
; %bb.7:                                ;   in Loop: Header=BB0_2 Depth=1
	v_dual_mov_b32 v10, v4 :: v_dual_mov_b32 v9, v3
	s_branch .LBB0_2
.LBB0_8:
	v_dual_mov_b32 v1, v7 :: v_dual_mov_b32 v2, v8
	s_delay_alu instid0(VALU_DEP_2)
	v_dual_mov_b32 v3, v9 :: v_dual_mov_b32 v4, v10
.LBB0_9:
	s_load_b64 s[0:1], s[0:1], 0x28
	v_mul_hi_u32 v5, 0x1e573ad, v0
	s_lshl_b64 s[6:7], s[6:7], 3
                                        ; implicit-def: $vgpr26
                                        ; implicit-def: $vgpr29
                                        ; implicit-def: $vgpr28
                                        ; implicit-def: $vgpr27
	s_wait_kmcnt 0x0
	v_cmp_gt_u64_e32 vcc_lo, s[0:1], v[3:4]
	v_cmp_le_u64_e64 s0, s[0:1], v[3:4]
	s_delay_alu instid0(VALU_DEP_1)
	s_and_saveexec_b32 s1, s0
	s_wait_alu 0xfffe
	s_xor_b32 s0, exec_lo, s1
; %bb.10:
	v_mul_u32_u24_e32 v5, 0x87, v5
                                        ; implicit-def: $vgpr7_vgpr8
	s_delay_alu instid0(VALU_DEP_1) | instskip(NEXT) | instid1(VALU_DEP_1)
	v_sub_nc_u32_e32 v26, v0, v5
                                        ; implicit-def: $vgpr5
                                        ; implicit-def: $vgpr0
	v_add_nc_u32_e32 v29, 0x87, v26
	v_add_nc_u32_e32 v28, 0x10e, v26
	v_add_nc_u32_e32 v27, 0x195, v26
; %bb.11:
	s_wait_alu 0xfffe
	s_or_saveexec_b32 s1, s0
	s_add_nc_u64 s[2:3], s[14:15], s[6:7]
                                        ; implicit-def: $vgpr17
                                        ; implicit-def: $vgpr11
                                        ; implicit-def: $vgpr15
                                        ; implicit-def: $vgpr13
                                        ; implicit-def: $vgpr9
                                        ; implicit-def: $vgpr25
                                        ; implicit-def: $vgpr19
                                        ; implicit-def: $vgpr23
                                        ; implicit-def: $vgpr21
                                        ; implicit-def: $vgpr6
	s_wait_alu 0xfffe
	s_xor_b32 exec_lo, exec_lo, s1
	s_cbranch_execz .LBB0_13
; %bb.12:
	s_add_nc_u64 s[6:7], s[12:13], s[6:7]
	v_mul_u32_u24_e32 v5, 0x87, v5
	s_load_b64 s[6:7], s[6:7], 0x0
	s_delay_alu instid0(VALU_DEP_1) | instskip(SKIP_1) | instid1(VALU_DEP_2)
	v_sub_nc_u32_e32 v26, v0, v5
	v_lshlrev_b64_e32 v[5:6], 3, v[7:8]
	v_mad_co_u64_u32 v[7:8], null, s18, v26, 0
	v_add_nc_u32_e32 v28, 0x10e, v26
	v_add_nc_u32_e32 v21, 0x32a, v26
	;; [unrolled: 1-line block ×5, first 2 shown]
	v_mad_co_u64_u32 v[9:10], null, s18, v28, 0
	v_mov_b32_e32 v0, v8
	v_mad_co_u64_u32 v[11:12], null, s18, v20, 0
	s_wait_kmcnt 0x0
	v_mul_lo_u32 v8, s7, v3
	v_mul_lo_u32 v19, s6, v4
	v_mad_co_u64_u32 v[13:14], null, s6, v3, 0
	v_mad_co_u64_u32 v[15:16], null, s18, v21, 0
	v_mad_co_u64_u32 v[17:18], null, s19, v26, v[0:1]
	v_mov_b32_e32 v0, v10
	v_dual_mov_b32 v10, v12 :: v_dual_add_nc_u32 v27, 0x195, v26
	v_add3_u32 v14, v14, v19, v8
	v_mov_b32_e32 v12, v16
	s_delay_alu instid0(VALU_DEP_4) | instskip(SKIP_1) | instid1(VALU_DEP_4)
	v_mad_co_u64_u32 v[18:19], null, s19, v28, v[0:1]
	v_mov_b32_e32 v8, v17
	v_lshlrev_b64_e32 v[13:14], 3, v[13:14]
	v_mad_co_u64_u32 v[24:25], null, s18, v22, 0
	v_mad_co_u64_u32 v[16:17], null, s19, v20, v[10:11]
	v_mov_b32_e32 v10, v18
	s_delay_alu instid0(VALU_DEP_4)
	v_add_co_u32 v0, s0, s8, v13
	v_mad_co_u64_u32 v[19:20], null, s19, v21, v[12:13]
	s_wait_alu 0xf1ff
	v_add_co_ci_u32_e64 v12, s0, s9, v14, s0
	v_lshlrev_b64_e32 v[7:8], 3, v[7:8]
	v_add_co_u32 v35, s0, v0, v5
	s_wait_alu 0xf1ff
	s_delay_alu instid0(VALU_DEP_3)
	v_add_co_ci_u32_e64 v36, s0, v12, v6, s0
	v_lshlrev_b64_e32 v[5:6], 3, v[9:10]
	v_mov_b32_e32 v0, v25
	v_add_co_u32 v7, s0, v35, v7
	v_mov_b32_e32 v12, v16
	v_mov_b32_e32 v16, v19
	s_wait_alu 0xf1ff
	v_add_co_ci_u32_e64 v8, s0, v36, v8, s0
	v_add_co_u32 v9, s0, v35, v5
	v_mad_co_u64_u32 v[13:14], null, s19, v22, v[0:1]
	s_wait_alu 0xf1ff
	v_add_co_ci_u32_e64 v10, s0, v36, v6, s0
	v_lshlrev_b64_e32 v[5:6], 3, v[11:12]
	v_lshlrev_b64_e32 v[11:12], 3, v[15:16]
	v_mad_co_u64_u32 v[14:15], null, s18, v29, 0
	v_mad_co_u64_u32 v[30:31], null, s18, v27, 0
	v_mov_b32_e32 v25, v13
	v_add_nc_u32_e32 v13, 0x2a3, v26
	v_add_co_u32 v16, s0, v35, v5
	v_mov_b32_e32 v0, v15
	s_wait_alu 0xf1ff
	v_add_co_ci_u32_e64 v17, s0, v36, v6, s0
	v_add_co_u32 v11, s0, v35, v11
	s_delay_alu instid0(VALU_DEP_3)
	v_mad_co_u64_u32 v[32:33], null, s19, v29, v[0:1]
	v_mad_co_u64_u32 v[33:34], null, s18, v13, 0
	s_wait_alu 0xf1ff
	v_add_co_ci_u32_e64 v12, s0, v36, v12, s0
	v_mov_b32_e32 v0, v31
	s_clause 0x3
	global_load_b64 v[5:6], v[7:8], off
	global_load_b64 v[20:21], v[9:10], off
	;; [unrolled: 1-line block ×4, first 2 shown]
	v_lshlrev_b64_e32 v[7:8], 3, v[24:25]
	v_add_nc_u32_e32 v24, 0x3b1, v26
	v_add_nc_u32_e32 v25, 0x4bf, v26
	v_mad_co_u64_u32 v[9:10], null, s19, v27, v[0:1]
	v_mov_b32_e32 v0, v34
	s_delay_alu instid0(VALU_DEP_4) | instskip(NEXT) | instid1(VALU_DEP_4)
	v_mad_co_u64_u32 v[10:11], null, s18, v24, 0
	v_mad_co_u64_u32 v[16:17], null, s18, v25, 0
	s_delay_alu instid0(VALU_DEP_3) | instskip(SKIP_3) | instid1(VALU_DEP_3)
	v_mad_co_u64_u32 v[12:13], null, s19, v13, v[0:1]
	v_mov_b32_e32 v15, v32
	v_add_co_u32 v7, s0, v35, v7
	v_dual_mov_b32 v0, v11 :: v_dual_mov_b32 v31, v9
	v_lshlrev_b64_e32 v[13:14], 3, v[14:15]
	v_mov_b32_e32 v34, v12
	s_wait_alu 0xf1ff
	v_add_co_ci_u32_e64 v8, s0, v36, v8, s0
	v_mad_co_u64_u32 v[11:12], null, s19, v24, v[0:1]
	v_mov_b32_e32 v0, v17
	v_add_co_u32 v12, s0, v35, v13
	s_wait_alu 0xf1ff
	v_add_co_ci_u32_e64 v13, s0, v36, v14, s0
	s_delay_alu instid0(VALU_DEP_3) | instskip(SKIP_3) | instid1(VALU_DEP_4)
	v_mad_co_u64_u32 v[24:25], null, s19, v25, v[0:1]
	v_lshlrev_b64_e32 v[14:15], 3, v[30:31]
	v_lshlrev_b64_e32 v[30:31], 3, v[33:34]
	;; [unrolled: 1-line block ×3, first 2 shown]
	v_mov_b32_e32 v17, v24
	s_delay_alu instid0(VALU_DEP_4)
	v_add_co_u32 v14, s0, v35, v14
	s_wait_alu 0xf1ff
	v_add_co_ci_u32_e64 v15, s0, v36, v15, s0
	v_add_co_u32 v30, s0, v35, v30
	v_lshlrev_b64_e32 v[16:17], 3, v[16:17]
	s_wait_alu 0xf1ff
	v_add_co_ci_u32_e64 v31, s0, v36, v31, s0
	v_add_co_u32 v32, s0, v35, v9
	s_wait_alu 0xf1ff
	v_add_co_ci_u32_e64 v33, s0, v36, v10, s0
	v_add_co_u32 v16, s0, v35, v16
	s_wait_alu 0xf1ff
	v_add_co_ci_u32_e64 v17, s0, v36, v17, s0
	s_clause 0x5
	global_load_b64 v[24:25], v[7:8], off
	global_load_b64 v[8:9], v[12:13], off
	;; [unrolled: 1-line block ×6, first 2 shown]
.LBB0_13:
	s_or_b32 exec_lo, exec_lo, s1
	s_wait_loadcnt 0x6
	v_dual_add_f32 v0, v18, v22 :: v_dual_add_f32 v7, v20, v5
	s_wait_loadcnt 0x5
	v_dual_sub_f32 v30, v21, v25 :: v_dual_sub_f32 v31, v23, v19
	v_sub_f32_e32 v32, v20, v22
	s_delay_alu instid0(VALU_DEP_3) | instskip(SKIP_2) | instid1(VALU_DEP_3)
	v_fma_f32 v0, -0.5, v0, v5
	v_add_f32_e32 v7, v22, v7
	v_dual_sub_f32 v33, v24, v18 :: v_dual_sub_f32 v36, v22, v20
	v_dual_add_f32 v34, v24, v20 :: v_dual_fmamk_f32 v35, v30, 0xbf737871, v0
	s_delay_alu instid0(VALU_DEP_3) | instskip(NEXT) | instid1(VALU_DEP_2)
	v_dual_add_f32 v7, v18, v7 :: v_dual_fmac_f32 v0, 0x3f737871, v30
	v_dual_add_f32 v32, v33, v32 :: v_dual_fmac_f32 v5, -0.5, v34
	v_sub_f32_e32 v33, v18, v24
	s_delay_alu instid0(VALU_DEP_3) | instskip(SKIP_1) | instid1(VALU_DEP_4)
	v_dual_add_f32 v37, v21, v6 :: v_dual_fmac_f32 v0, 0x3f167918, v31
	v_sub_f32_e32 v20, v20, v24
	v_fmamk_f32 v34, v31, 0x3f737871, v5
	v_fmac_f32_e32 v35, 0xbf167918, v31
	v_add_f32_e32 v38, v19, v23
	v_fmac_f32_e32 v5, 0xbf737871, v31
	s_delay_alu instid0(VALU_DEP_4) | instskip(NEXT) | instid1(VALU_DEP_4)
	v_dual_add_f32 v31, v23, v37 :: v_dual_fmac_f32 v34, 0xbf167918, v30
	v_fmac_f32_e32 v35, 0x3e9e377a, v32
	v_add_f32_e32 v33, v33, v36
	v_fma_f32 v36, -0.5, v38, v6
	v_dual_add_f32 v7, v24, v7 :: v_dual_fmac_f32 v0, 0x3e9e377a, v32
	v_fmac_f32_e32 v5, 0x3f167918, v30
	v_sub_f32_e32 v18, v22, v18
	v_sub_f32_e32 v22, v21, v23
	v_fmamk_f32 v30, v20, 0x3f737871, v36
	v_dual_add_f32 v24, v19, v31 :: v_dual_add_f32 v31, v25, v21
	v_dual_sub_f32 v32, v25, v19 :: v_dual_fmac_f32 v5, 0x3e9e377a, v33
	s_delay_alu instid0(VALU_DEP_3) | instskip(NEXT) | instid1(VALU_DEP_3)
	v_dual_fmac_f32 v30, 0x3f167918, v18 :: v_dual_sub_f32 v19, v19, v25
	v_dual_fmac_f32 v6, -0.5, v31 :: v_dual_sub_f32 v21, v23, v21
	s_wait_loadcnt 0x1
	v_dual_fmac_f32 v36, 0xbf737871, v20 :: v_dual_add_f32 v23, v10, v14
	v_add_f32_e32 v22, v32, v22
	s_delay_alu instid0(VALU_DEP_3) | instskip(SKIP_1) | instid1(VALU_DEP_4)
	v_dual_fmamk_f32 v32, v18, 0xbf737871, v6 :: v_dual_add_f32 v19, v19, v21
	v_dual_fmac_f32 v34, 0x3e9e377a, v33 :: v_dual_add_f32 v31, v25, v24
	v_fma_f32 v21, -0.5, v23, v8
	s_wait_loadcnt 0x0
	v_dual_sub_f32 v23, v13, v17 :: v_dual_fmac_f32 v6, 0x3f737871, v18
	v_fmac_f32_e32 v36, 0xbf167918, v18
	v_dual_fmac_f32 v32, 0x3f167918, v20 :: v_dual_sub_f32 v25, v16, v10
	v_sub_f32_e32 v24, v12, v14
	s_delay_alu instid0(VALU_DEP_4) | instskip(SKIP_1) | instid1(VALU_DEP_4)
	v_fmac_f32_e32 v6, 0xbf167918, v20
	v_dual_fmac_f32 v30, 0x3e9e377a, v22 :: v_dual_add_f32 v33, v16, v12
	v_fmac_f32_e32 v32, 0x3e9e377a, v19
	v_dual_fmamk_f32 v20, v23, 0xbf737871, v21 :: v_dual_sub_f32 v37, v10, v16
	v_dual_fmac_f32 v21, 0x3f737871, v23 :: v_dual_add_f32 v24, v25, v24
	v_add_f32_e32 v25, v11, v15
	v_dual_fmac_f32 v6, 0x3e9e377a, v19 :: v_dual_add_f32 v19, v13, v9
	v_fmac_f32_e32 v36, 0x3e9e377a, v22
	v_sub_f32_e32 v22, v15, v11
	v_add_f32_e32 v18, v12, v8
	v_dual_fmac_f32 v8, -0.5, v33 :: v_dual_sub_f32 v33, v14, v12
	s_delay_alu instid0(VALU_DEP_3) | instskip(SKIP_1) | instid1(VALU_DEP_4)
	v_dual_add_f32 v19, v15, v19 :: v_dual_fmac_f32 v20, 0xbf167918, v22
	v_fmac_f32_e32 v21, 0x3f167918, v22
	v_add_f32_e32 v18, v14, v18
	v_sub_f32_e32 v12, v12, v16
	v_mad_u32_u24 v53, v26, 20, 0
	v_fmac_f32_e32 v20, 0x3e9e377a, v24
	v_fmac_f32_e32 v21, 0x3e9e377a, v24
	v_fmamk_f32 v24, v22, 0x3f737871, v8
	v_fmac_f32_e32 v8, 0xbf737871, v22
	v_fma_f32 v22, -0.5, v25, v9
	v_add_f32_e32 v18, v10, v18
	s_delay_alu instid0(VALU_DEP_4) | instskip(NEXT) | instid1(VALU_DEP_4)
	v_dual_fmac_f32 v24, 0xbf167918, v23 :: v_dual_lshlrev_b32 v55, 4, v26
	v_dual_fmac_f32 v8, 0x3f167918, v23 :: v_dual_add_f32 v23, v17, v13
	v_add_f32_e32 v19, v11, v19
	s_delay_alu instid0(VALU_DEP_3)
	v_sub_nc_u32_e32 v57, v53, v55
	v_sub_f32_e32 v10, v14, v10
	s_load_b64 s[2:3], s[2:3], 0x0
	v_dual_fmac_f32 v9, -0.5, v23 :: v_dual_add_f32 v18, v16, v18
	v_add_f32_e32 v16, v37, v33
	v_add_f32_e32 v14, v17, v19
	v_sub_f32_e32 v19, v17, v11
	v_fmamk_f32 v33, v12, 0x3f737871, v22
	ds_store_2addr_b32 v53, v7, v35 offset1:1
	ds_store_2addr_b32 v53, v34, v5 offset0:2 offset1:3
	ds_store_b32 v53, v0 offset:16
	v_fmac_f32_e32 v24, 0x3e9e377a, v16
	v_fmac_f32_e32 v8, 0x3e9e377a, v16
	v_dual_sub_f32 v16, v13, v15 :: v_dual_add_nc_u32 v35, 0xc00, v57
	v_sub_f32_e32 v13, v15, v13
	v_fmac_f32_e32 v33, 0x3f167918, v10
	v_fmamk_f32 v37, v10, 0xbf737871, v9
	s_delay_alu instid0(VALU_DEP_4) | instskip(SKIP_3) | instid1(VALU_DEP_4)
	v_add_f32_e32 v15, v19, v16
	v_and_b32_e32 v19, 0xff, v26
	v_fmac_f32_e32 v9, 0x3f737871, v10
	v_sub_f32_e32 v11, v11, v17
	v_dual_fmac_f32 v33, 0x3e9e377a, v15 :: v_dual_lshlrev_b32 v54, 4, v29
	s_delay_alu instid0(VALU_DEP_4)
	v_mul_lo_u16 v0, 0xcd, v19
	v_fmac_f32_e32 v22, 0xbf737871, v12
	v_fmac_f32_e32 v37, 0x3f167918, v12
	;; [unrolled: 1-line block ×3, first 2 shown]
	v_lshl_add_u32 v23, v28, 2, 0
	v_lshrrev_b16 v12, 10, v0
	v_fmac_f32_e32 v22, 0xbf167918, v10
	v_add_f32_e32 v10, v11, v13
	v_mad_i32_i24 v11, v29, 20, 0
	v_lshl_add_u32 v0, v27, 2, 0
	v_mul_lo_u16 v5, v12, 5
	v_add_nc_u32_e32 v13, 0x800, v57
	v_add_nc_u32_e32 v58, 0x1000, v57
	v_sub_nc_u32_e32 v56, v11, v54
	v_fmac_f32_e32 v37, 0x3e9e377a, v10
	v_sub_nc_u16 v5, v26, v5
	v_fmac_f32_e32 v9, 0x3e9e377a, v10
	ds_store_2addr_b32 v11, v18, v20 offset1:1
	ds_store_2addr_b32 v11, v24, v8 offset0:2 offset1:3
	ds_store_b32 v11, v21 offset:16
	global_wb scope:SCOPE_SE
	s_wait_dscnt 0x0
	s_wait_kmcnt 0x0
	s_barrier_signal -1
	s_barrier_wait -1
	global_inv scope:SCOPE_SE
	ds_load_b32 v34, v56
	ds_load_b32 v39, v23
	;; [unrolled: 1-line block ×4, first 2 shown]
	ds_load_2addr_b32 v[20:21], v13 offset0:28 offset1:163
	ds_load_2addr_b32 v[24:25], v35 offset0:42 offset1:177
	;; [unrolled: 1-line block ×3, first 2 shown]
	v_and_b32_e32 v40, 0xff, v5
	v_fmac_f32_e32 v22, 0x3e9e377a, v15
	global_wb scope:SCOPE_SE
	s_wait_dscnt 0x0
	s_barrier_signal -1
	s_barrier_wait -1
	v_mul_u32_u24_e32 v5, 9, v40
	global_inv scope:SCOPE_SE
	ds_store_2addr_b32 v53, v31, v30 offset1:1
	ds_store_2addr_b32 v53, v32, v6 offset0:2 offset1:3
	ds_store_b32 v53, v36 offset:16
	ds_store_2addr_b32 v11, v14, v33 offset1:1
	ds_store_2addr_b32 v11, v37, v9 offset0:2 offset1:3
	ds_store_b32 v11, v22 offset:16
	global_wb scope:SCOPE_SE
	s_wait_dscnt 0x0
	s_barrier_signal -1
	v_lshlrev_b32_e32 v9, 3, v5
	s_barrier_wait -1
	global_inv scope:SCOPE_SE
	s_clause 0x4
	global_load_b128 v[5:8], v9, s[4:5]
	global_load_b128 v[15:18], v9, s[4:5] offset:16
	global_load_b128 v[41:44], v9, s[4:5] offset:32
	;; [unrolled: 1-line block ×3, first 2 shown]
	global_load_b64 v[9:10], v9, s[4:5] offset:64
	ds_load_b32 v22, v56
	ds_load_b32 v32, v23
	;; [unrolled: 1-line block ×3, first 2 shown]
	ds_load_2addr_b32 v[30:31], v13 offset0:28 offset1:163
	ds_load_2addr_b32 v[37:38], v35 offset0:42 offset1:177
	v_add_nc_u32_e32 v61, 0x600, v57
	v_cmp_gt_u32_e64 s0, 45, v26
	s_wait_loadcnt_dscnt 0x302
	v_mul_f32_e32 v63, v36, v16
	s_wait_dscnt 0x1
	v_mul_f32_e32 v33, v30, v18
	s_wait_loadcnt_dscnt 0x100
	v_mul_f32_e32 v67, v38, v46
	ds_load_2addr_b32 v[51:52], v58 offset0:56 offset1:191
	v_dual_mul_f32 v65, v31, v42 :: v_dual_and_b32 v12, 0xffff, v12
	v_fmac_f32_e32 v33, v20, v17
	v_dual_fmac_f32 v63, v60, v15 :: v_dual_lshlrev_b32 v14, 2, v40
	s_delay_alu instid0(VALU_DEP_3) | instskip(NEXT) | instid1(VALU_DEP_4)
	v_mul_u32_u24_e32 v13, 0xc8, v12
	v_dual_fmac_f32 v65, v21, v41 :: v_dual_mul_f32 v40, v32, v8
	v_mul_f32_e32 v64, v60, v16
	v_mul_f32_e32 v35, v37, v44
	s_delay_alu instid0(VALU_DEP_4)
	v_add3_u32 v13, 0, v13, v14
	v_mul_f32_e32 v14, v22, v6
	v_dual_mul_f32 v6, v34, v6 :: v_dual_fmac_f32 v67, v25, v45
	v_fmac_f32_e32 v40, v39, v7
	v_mul_f32_e32 v18, v20, v18
	v_mul_f32_e32 v66, v24, v44
	v_fmac_f32_e32 v14, v34, v5
	v_fma_f32 v16, v22, v5, -v6
	s_wait_dscnt 0x0
	v_mul_f32_e32 v44, v51, v48
	v_dual_add_f32 v5, v59, v40 :: v_dual_add_nc_u32 v62, 0xb00, v57
	v_fmac_f32_e32 v35, v24, v43
	s_wait_loadcnt 0x0
	v_mul_f32_e32 v68, v52, v10
	v_fmac_f32_e32 v44, v49, v47
	v_dual_add_f32 v5, v5, v33 :: v_dual_mul_f32 v8, v39, v8
	v_mul_f32_e32 v42, v21, v42
	v_add_f32_e32 v6, v33, v35
	ds_load_b32 v12, v57
	v_add_f32_e32 v5, v5, v35
	v_fma_f32 v34, v32, v7, -v8
	v_fma_f32 v31, v31, v41, -v42
	v_sub_f32_e32 v41, v63, v65
	v_fma_f32 v32, v36, v15, -v64
	v_fma_f32 v36, v30, v17, -v18
	v_add_f32_e32 v17, v40, v44
	v_fma_f32 v6, -0.5, v6, v59
	global_wb scope:SCOPE_SE
	s_wait_dscnt 0x0
	s_barrier_signal -1
	s_barrier_wait -1
	v_dual_fmac_f32 v59, -0.5, v17 :: v_dual_mul_f32 v46, v25, v46
	v_sub_f32_e32 v21, v35, v44
	v_add_f32_e32 v5, v5, v44
	global_inv scope:SCOPE_SE
	v_fma_f32 v18, v38, v45, -v46
	v_mul_f32_e32 v48, v49, v48
	v_dual_sub_f32 v49, v65, v67 :: v_dual_fmac_f32 v68, v50, v9
	v_dual_mul_f32 v10, v50, v10 :: v_dual_sub_f32 v45, v65, v63
	v_fma_f32 v37, v37, v43, -v66
	s_delay_alu instid0(VALU_DEP_4) | instskip(NEXT) | instid1(VALU_DEP_4)
	v_fma_f32 v39, v51, v47, -v48
	v_add_f32_e32 v43, v63, v68
	s_delay_alu instid0(VALU_DEP_4)
	v_fma_f32 v15, v52, v9, -v10
	v_sub_f32_e32 v9, v40, v33
	v_sub_f32_e32 v8, v36, v37
	;; [unrolled: 1-line block ×4, first 2 shown]
	v_dual_add_f32 v24, v65, v67 :: v_dual_sub_f32 v51, v15, v18
	v_add_f32_e32 v22, v14, v63
	v_sub_f32_e32 v7, v34, v39
	v_sub_f32_e32 v25, v32, v15
	v_dual_add_f32 v9, v9, v10 :: v_dual_sub_f32 v48, v63, v68
	s_delay_alu instid0(VALU_DEP_4) | instskip(SKIP_3) | instid1(VALU_DEP_4)
	v_dual_sub_f32 v50, v32, v31 :: v_dual_add_f32 v17, v22, v65
	v_fma_f32 v38, -0.5, v24, v14
	v_sub_f32_e32 v42, v68, v67
	v_dual_sub_f32 v46, v67, v68 :: v_dual_sub_f32 v63, v18, v15
	v_add_f32_e32 v17, v17, v67
	v_sub_f32_e32 v20, v33, v40
	v_fmac_f32_e32 v14, -0.5, v43
	v_dual_fmamk_f32 v43, v25, 0xbf737871, v38 :: v_dual_add_f32 v22, v50, v51
	v_fmamk_f32 v50, v7, 0xbf737871, v6
	v_fmamk_f32 v51, v8, 0x3f737871, v59
	v_dual_add_f32 v47, v31, v18 :: v_dual_add_f32 v52, v32, v15
	v_dual_fmac_f32 v59, 0xbf737871, v8 :: v_dual_add_f32 v10, v20, v21
	s_delay_alu instid0(VALU_DEP_3) | instskip(SKIP_1) | instid1(VALU_DEP_3)
	v_dual_fmac_f32 v50, 0xbf167918, v8 :: v_dual_fmac_f32 v51, 0xbf167918, v7
	v_add_f32_e32 v21, v45, v46
	v_fmac_f32_e32 v59, 0x3f167918, v7
	v_fmac_f32_e32 v43, 0xbf167918, v30
	s_delay_alu instid0(VALU_DEP_4)
	v_dual_fmac_f32 v50, 0x3e9e377a, v9 :: v_dual_fmac_f32 v51, 0x3e9e377a, v10
	v_dual_fmac_f32 v6, 0x3f737871, v7 :: v_dual_add_f32 v7, v17, v68
	v_dual_fmamk_f32 v45, v30, 0x3f737871, v14 :: v_dual_add_f32 v20, v41, v42
	v_fma_f32 v41, -0.5, v47, v16
	v_fma_f32 v42, -0.5, v52, v16
	v_sub_f32_e32 v60, v31, v32
	v_fmac_f32_e32 v38, 0x3f737871, v25
	v_fmac_f32_e32 v6, 0x3f167918, v8
	v_fmamk_f32 v47, v48, 0x3f737871, v41
	v_fmamk_f32 v46, v49, 0xbf737871, v42
	v_dual_add_f32 v24, v60, v63 :: v_dual_fmac_f32 v41, 0xbf737871, v48
	v_fmac_f32_e32 v42, 0x3f737871, v49
	s_delay_alu instid0(VALU_DEP_3) | instskip(SKIP_1) | instid1(VALU_DEP_4)
	v_dual_fmac_f32 v47, 0x3f167918, v49 :: v_dual_fmac_f32 v46, 0x3f167918, v48
	v_fmac_f32_e32 v45, 0xbf167918, v25
	v_fmac_f32_e32 v41, 0xbf167918, v49
	v_dual_fmac_f32 v6, 0x3e9e377a, v9 :: v_dual_fmac_f32 v59, 0x3e9e377a, v10
	v_fmac_f32_e32 v38, 0x3f167918, v30
	v_dual_fmac_f32 v47, 0x3e9e377a, v22 :: v_dual_fmac_f32 v46, 0x3e9e377a, v24
	v_fmac_f32_e32 v45, 0x3e9e377a, v21
	v_fmac_f32_e32 v41, 0x3e9e377a, v22
	;; [unrolled: 1-line block ×4, first 2 shown]
	v_mul_f32_e32 v9, 0xbf737871, v46
	s_delay_alu instid0(VALU_DEP_4) | instskip(NEXT) | instid1(VALU_DEP_4)
	v_dual_mul_f32 v8, 0xbf167918, v47 :: v_dual_mul_f32 v17, 0xbf167918, v41
	v_fmac_f32_e32 v42, 0x3e9e377a, v24
	v_sub_nc_u32_e32 v48, 0, v54
	s_delay_alu instid0(VALU_DEP_4) | instskip(SKIP_1) | instid1(VALU_DEP_4)
	v_fmac_f32_e32 v9, 0x3e9e377a, v45
	v_fmac_f32_e32 v14, 0xbf737871, v30
	v_mul_f32_e32 v10, 0xbf737871, v42
	s_delay_alu instid0(VALU_DEP_2) | instskip(SKIP_2) | instid1(VALU_DEP_3)
	v_fmac_f32_e32 v14, 0x3f167918, v25
	v_dual_fmac_f32 v43, 0x3e9e377a, v20 :: v_dual_add_f32 v20, v5, v7
	v_sub_f32_e32 v5, v5, v7
                                        ; implicit-def: $vgpr25
	v_fmac_f32_e32 v14, 0x3e9e377a, v21
	s_delay_alu instid0(VALU_DEP_3) | instskip(NEXT) | instid1(VALU_DEP_2)
	v_dual_fmac_f32 v8, 0x3f4f1bbd, v43 :: v_dual_add_f32 v21, v51, v9
	v_dual_sub_f32 v9, v51, v9 :: v_dual_fmamk_f32 v10, v14, 0xbe9e377a, v10
	v_fmamk_f32 v17, v38, 0xbf4f1bbd, v17
	s_delay_alu instid0(VALU_DEP_3) | instskip(SKIP_1) | instid1(VALU_DEP_4)
	v_add_f32_e32 v7, v50, v8
	v_sub_f32_e32 v8, v50, v8
	v_add_f32_e32 v22, v59, v10
	s_delay_alu instid0(VALU_DEP_4)
	v_add_f32_e32 v24, v6, v17
	v_dual_sub_f32 v10, v59, v10 :: v_dual_sub_f32 v17, v6, v17
	ds_store_2addr_b32 v13, v20, v7 offset1:5
	ds_store_2addr_b32 v13, v21, v22 offset0:10 offset1:15
	ds_store_2addr_b32 v13, v24, v5 offset0:20 offset1:25
	;; [unrolled: 1-line block ×4, first 2 shown]
	global_wb scope:SCOPE_SE
	s_wait_dscnt 0x0
	s_barrier_signal -1
	s_barrier_wait -1
	global_inv scope:SCOPE_SE
	ds_load_2addr_b32 v[9:10], v61 offset0:66 offset1:201
	ds_load_2addr_b32 v[5:6], v62 offset0:16 offset1:196
	ds_load_b32 v20, v56
	ds_load_2addr_b32 v[7:8], v58 offset0:11 offset1:146
	ds_load_b32 v22, v57
	ds_load_b32 v21, v23
	v_sub_nc_u32_e32 v24, 0, v55
	s_delay_alu instid0(VALU_DEP_1)
	v_add_nc_u32_e32 v30, v53, v24
                                        ; implicit-def: $vgpr24
	s_and_saveexec_b32 s1, s0
	s_cbranch_execz .LBB0_15
; %bb.14:
	ds_load_b32 v17, v0
	ds_load_b32 v25, v30 offset:3420
	ds_load_b32 v24, v30 offset:5220
.LBB0_15:
	s_wait_alu 0xfffe
	s_or_b32 exec_lo, exec_lo, s1
	v_add_f32_e32 v49, v12, v34
	v_dual_sub_f32 v40, v40, v44 :: v_dual_add_f32 v51, v34, v39
	v_sub_f32_e32 v44, v34, v36
	s_delay_alu instid0(VALU_DEP_3)
	v_dual_add_f32 v50, v36, v37 :: v_dual_add_f32 v49, v49, v36
	v_dual_sub_f32 v52, v39, v37 :: v_dual_sub_f32 v33, v33, v35
	global_wb scope:SCOPE_SE
	s_wait_dscnt 0x0
	v_fma_f32 v50, -0.5, v50, v12
	v_dual_add_f32 v35, v49, v37 :: v_dual_fmac_f32 v12, -0.5, v51
	v_add_f32_e32 v44, v44, v52
	s_barrier_signal -1
	s_delay_alu instid0(VALU_DEP_3) | instskip(SKIP_3) | instid1(VALU_DEP_4)
	v_fmamk_f32 v49, v40, 0x3f737871, v50
	v_sub_f32_e32 v34, v36, v34
	v_sub_f32_e32 v36, v37, v39
	v_dual_fmamk_f32 v51, v33, 0xbf737871, v12 :: v_dual_add_f32 v16, v16, v32
	v_fmac_f32_e32 v49, 0x3f167918, v33
	s_delay_alu instid0(VALU_DEP_3) | instskip(NEXT) | instid1(VALU_DEP_3)
	v_dual_add_f32 v35, v35, v39 :: v_dual_add_f32 v32, v34, v36
	v_dual_fmac_f32 v51, 0x3f167918, v40 :: v_dual_add_f32 v16, v16, v31
	s_delay_alu instid0(VALU_DEP_3) | instskip(SKIP_2) | instid1(VALU_DEP_3)
	v_fmac_f32_e32 v49, 0x3e9e377a, v44
	v_mul_f32_e32 v31, 0x3e9e377a, v46
	s_barrier_wait -1
	v_dual_fmac_f32 v51, 0x3e9e377a, v32 :: v_dual_add_f32 v16, v16, v18
	v_fmac_f32_e32 v50, 0xbf737871, v40
	v_mul_f32_e32 v18, 0x3f4f1bbd, v47
	global_inv scope:SCOPE_SE
	v_dual_add_f32 v15, v16, v15 :: v_dual_fmac_f32 v50, 0xbf167918, v33
	v_fmac_f32_e32 v18, 0x3f167918, v43
	v_fmac_f32_e32 v12, 0x3f737871, v33
	v_mul_f32_e32 v33, 0x3f4f1bbd, v41
	v_fmac_f32_e32 v31, 0x3f737871, v45
	s_delay_alu instid0(VALU_DEP_2) | instskip(NEXT) | instid1(VALU_DEP_4)
	v_fma_f32 v16, 0x3f167918, v38, -v33
	v_dual_add_f32 v33, v49, v18 :: v_dual_fmac_f32 v12, 0xbf167918, v40
	s_delay_alu instid0(VALU_DEP_1) | instskip(SKIP_1) | instid1(VALU_DEP_1)
	v_fmac_f32_e32 v12, 0x3e9e377a, v32
	v_mul_f32_e32 v32, 0x3e9e377a, v42
	v_fma_f32 v14, 0x3f737871, v14, -v32
	v_add_f32_e32 v32, v35, v15
	v_dual_sub_f32 v15, v35, v15 :: v_dual_fmac_f32 v50, 0x3e9e377a, v44
	v_add_f32_e32 v34, v51, v31
	s_delay_alu instid0(VALU_DEP_4) | instskip(NEXT) | instid1(VALU_DEP_3)
	v_dual_add_f32 v36, v12, v14 :: v_dual_sub_f32 v31, v51, v31
	v_dual_sub_f32 v12, v12, v14 :: v_dual_add_f32 v37, v50, v16
	v_dual_sub_f32 v35, v49, v18 :: v_dual_sub_f32 v18, v50, v16
	ds_store_2addr_b32 v13, v32, v33 offset1:5
	ds_store_2addr_b32 v13, v34, v36 offset0:10 offset1:15
	ds_store_2addr_b32 v13, v37, v15 offset0:20 offset1:25
	;; [unrolled: 1-line block ×4, first 2 shown]
	v_add_nc_u32_e32 v31, v11, v48
	v_add_nc_u32_e32 v12, 0x600, v30
	;; [unrolled: 1-line block ×4, first 2 shown]
	global_wb scope:SCOPE_SE
	s_wait_dscnt 0x0
	s_barrier_signal -1
	s_barrier_wait -1
	global_inv scope:SCOPE_SE
	ds_load_2addr_b32 v[15:16], v12 offset0:66 offset1:201
	ds_load_2addr_b32 v[13:14], v13 offset0:16 offset1:196
	;; [unrolled: 1-line block ×3, first 2 shown]
	ds_load_b32 v35, v30
	ds_load_b32 v34, v31
	;; [unrolled: 1-line block ×3, first 2 shown]
                                        ; implicit-def: $vgpr36
                                        ; implicit-def: $vgpr37
	s_and_saveexec_b32 s1, s0
	s_cbranch_execz .LBB0_17
; %bb.16:
	ds_load_b32 v18, v0
	ds_load_b32 v37, v30 offset:3420
	ds_load_b32 v36, v30 offset:5220
.LBB0_17:
	s_wait_alu 0xfffe
	s_or_b32 exec_lo, exec_lo, s1
	v_lshrrev_b16 v32, 1, v29
	v_mul_lo_u16 v19, v19, 41
	v_lshrrev_b16 v38, 1, v28
	s_delay_alu instid0(VALU_DEP_3) | instskip(NEXT) | instid1(VALU_DEP_3)
	v_and_b32_e32 v39, 0xffff, v32
	v_lshrrev_b16 v40, 11, v19
	s_delay_alu instid0(VALU_DEP_3) | instskip(SKIP_1) | instid1(VALU_DEP_4)
	v_and_b32_e32 v32, 0xffff, v38
	v_lshrrev_b16 v19, 1, v27
	v_mul_u32_u24_e32 v38, 0x147b, v39
	s_delay_alu instid0(VALU_DEP_4) | instskip(NEXT) | instid1(VALU_DEP_2)
	v_mul_lo_u16 v39, v40, 50
	v_lshrrev_b32_e32 v38, 17, v38
	s_delay_alu instid0(VALU_DEP_2) | instskip(NEXT) | instid1(VALU_DEP_2)
	v_sub_nc_u16 v39, v26, v39
	v_mul_lo_u16 v43, v38, 50
	s_delay_alu instid0(VALU_DEP_2) | instskip(NEXT) | instid1(VALU_DEP_2)
	v_and_b32_e32 v39, 0xff, v39
	v_sub_nc_u16 v43, v29, v43
	s_delay_alu instid0(VALU_DEP_2) | instskip(NEXT) | instid1(VALU_DEP_2)
	v_lshlrev_b32_e32 v45, 4, v39
	v_and_b32_e32 v43, 0xffff, v43
	global_load_b128 v[50:53], v45, s[4:5] offset:360
	v_and_b32_e32 v19, 0xffff, v19
	v_lshlrev_b32_e32 v45, 4, v43
	global_load_b128 v[54:57], v45, s[4:5] offset:360
	v_and_b32_e32 v40, 0xffff, v40
	s_delay_alu instid0(VALU_DEP_1)
	v_mul_u32_u24_e32 v40, 0x258, v40
	s_wait_loadcnt_dscnt 0x105
	v_mul_f32_e32 v47, v15, v51
	v_mul_u32_u24_e32 v41, 0x147b, v32
	s_wait_dscnt 0x4
	v_mul_f32_e32 v49, v14, v53
	s_delay_alu instid0(VALU_DEP_3) | instskip(NEXT) | instid1(VALU_DEP_3)
	v_fmac_f32_e32 v47, v9, v50
	v_lshrrev_b32_e32 v41, 17, v41
	s_wait_loadcnt_dscnt 0x3
	s_delay_alu instid0(VALU_DEP_3) | instskip(SKIP_1) | instid1(VALU_DEP_3)
	v_dual_fmac_f32 v49, v6, v52 :: v_dual_mul_f32 v48, v11, v57
	v_lshlrev_b32_e32 v39, 2, v39
	v_mul_lo_u16 v44, v41, 50
	v_mul_u32_u24_e32 v41, 0x258, v41
	s_delay_alu instid0(VALU_DEP_4) | instskip(NEXT) | instid1(VALU_DEP_4)
	v_fmac_f32_e32 v48, v7, v56
	v_add3_u32 v39, 0, v40, v39
	s_delay_alu instid0(VALU_DEP_4) | instskip(SKIP_1) | instid1(VALU_DEP_2)
	v_sub_nc_u16 v44, v28, v44
	v_lshlrev_b32_e32 v40, 2, v43
	v_and_b32_e32 v44, 0xffff, v44
	s_delay_alu instid0(VALU_DEP_1) | instskip(SKIP_3) | instid1(VALU_DEP_3)
	v_lshlrev_b32_e32 v46, 4, v44
	v_dual_mul_f32 v44, v6, v53 :: v_dual_lshlrev_b32 v43, 2, v44
	v_mul_f32_e32 v6, v10, v55
	v_mul_u32_u24_e32 v42, 0x147b, v19
	v_add3_u32 v43, 0, v41, v43
	s_delay_alu instid0(VALU_DEP_2) | instskip(NEXT) | instid1(VALU_DEP_1)
	v_lshrrev_b32_e32 v42, 17, v42
	v_mul_lo_u16 v42, v42, 50
	s_delay_alu instid0(VALU_DEP_1) | instskip(NEXT) | instid1(VALU_DEP_1)
	v_sub_nc_u16 v42, v27, v42
	v_and_b32_e32 v42, 0xffff, v42
	s_delay_alu instid0(VALU_DEP_1)
	v_lshlrev_b32_e32 v45, 4, v42
	s_clause 0x1
	global_load_b128 v[58:61], v46, s[4:5] offset:360
	global_load_b128 v[62:65], v45, s[4:5] offset:360
	v_mul_f32_e32 v46, v16, v55
	v_mul_u32_u24_e32 v45, 0x258, v38
	v_lshl_add_u32 v38, v42, 2, 0
	global_wb scope:SCOPE_SE
	s_wait_loadcnt_dscnt 0x0
	s_barrier_signal -1
	v_fmac_f32_e32 v46, v10, v54
	s_barrier_wait -1
	global_inv scope:SCOPE_SE
	v_mul_f32_e32 v41, v12, v61
	v_add3_u32 v42, 0, v45, v40
	v_mul_f32_e32 v40, v9, v51
	v_fma_f32 v45, v14, v52, -v44
	v_dual_mul_f32 v14, v13, v59 :: v_dual_mul_f32 v53, v8, v61
	v_mul_f32_e32 v9, v7, v57
	s_delay_alu instid0(VALU_DEP_4)
	v_fma_f32 v50, v15, v50, -v40
	v_mul_f32_e32 v44, v36, v65
	v_add_f32_e32 v61, v47, v49
	v_mul_f32_e32 v15, v37, v63
	v_fmac_f32_e32 v14, v5, v58
	v_dual_mul_f32 v40, v5, v59 :: v_dual_mul_f32 v57, v24, v65
	v_dual_mul_f32 v55, v25, v63 :: v_dual_fmac_f32 v44, v24, v64
	s_delay_alu instid0(VALU_DEP_3)
	v_dual_sub_f32 v63, v50, v45 :: v_dual_add_f32 v10, v21, v14
	v_add_f32_e32 v59, v22, v47
	v_fma_f32 v52, v16, v54, -v6
	v_fma_f32 v51, v11, v56, -v9
	v_dual_fmac_f32 v22, -0.5, v61 :: v_dual_fmac_f32 v15, v25, v62
	v_fmac_f32_e32 v41, v8, v60
	v_add_f32_e32 v8, v46, v48
	v_fma_f32 v11, v12, v60, -v53
	v_fma_f32 v16, v37, v62, -v55
	;; [unrolled: 1-line block ×3, first 2 shown]
	v_add_f32_e32 v36, v17, v15
	v_fmamk_f32 v6, v63, 0xbf5db3d7, v22
	v_add_f32_e32 v5, v59, v49
	v_dual_add_f32 v7, v20, v46 :: v_dual_add_f32 v24, v14, v41
	v_dual_sub_f32 v9, v52, v51 :: v_dual_fmac_f32 v20, -0.5, v8
	v_dual_add_f32 v37, v15, v44 :: v_dual_fmac_f32 v22, 0x3f5db3d7, v63
	v_fma_f32 v13, v13, v58, -v40
	v_sub_f32_e32 v40, v16, v12
	v_fmac_f32_e32 v21, -0.5, v24
	ds_store_2addr_b32 v39, v5, v6 offset1:50
	ds_store_b32 v39, v22 offset:400
	v_fmamk_f32 v5, v9, 0xbf5db3d7, v20
	v_fmac_f32_e32 v20, 0x3f5db3d7, v9
	v_dual_add_f32 v24, v36, v44 :: v_dual_fmac_f32 v17, -0.5, v37
	v_dual_sub_f32 v25, v13, v11 :: v_dual_add_f32 v8, v10, v41
	s_delay_alu instid0(VALU_DEP_2) | instskip(NEXT) | instid1(VALU_DEP_2)
	v_dual_add_f32 v7, v7, v48 :: v_dual_fmamk_f32 v22, v40, 0xbf5db3d7, v17
	v_fmamk_f32 v6, v25, 0xbf5db3d7, v21
	v_fmac_f32_e32 v17, 0x3f5db3d7, v40
	v_fmac_f32_e32 v21, 0x3f5db3d7, v25
	ds_store_2addr_b32 v42, v7, v5 offset1:50
	ds_store_b32 v42, v20 offset:400
	ds_store_2addr_b32 v43, v8, v6 offset1:50
	ds_store_b32 v43, v21 offset:400
	s_and_saveexec_b32 s1, s0
	s_cbranch_execz .LBB0_19
; %bb.18:
	v_add_nc_u32_e32 v5, 0x1000, v38
	ds_store_2addr_b32 v5, v24, v22 offset0:176 offset1:226
	ds_store_b32 v38, v17 offset:5200
.LBB0_19:
	s_wait_alu 0xfffe
	s_or_b32 exec_lo, exec_lo, s1
	v_add_nc_u32_e32 v5, 0x600, v30
	v_add_nc_u32_e32 v6, 0xb00, v30
	;; [unrolled: 1-line block ×3, first 2 shown]
	global_wb scope:SCOPE_SE
	s_wait_dscnt 0x0
	s_barrier_signal -1
	s_barrier_wait -1
	global_inv scope:SCOPE_SE
	ds_load_2addr_b32 v[9:10], v5 offset0:66 offset1:201
	ds_load_2addr_b32 v[7:8], v6 offset0:16 offset1:196
	;; [unrolled: 1-line block ×3, first 2 shown]
	ds_load_b32 v40, v30
	ds_load_b32 v36, v31
	;; [unrolled: 1-line block ×3, first 2 shown]
	s_and_saveexec_b32 s1, s0
	s_cbranch_execz .LBB0_21
; %bb.20:
	ds_load_b32 v24, v0
	ds_load_b32 v22, v30 offset:3420
	ds_load_b32 v17, v30 offset:5220
.LBB0_21:
	s_wait_alu 0xfffe
	s_or_b32 exec_lo, exec_lo, s1
	v_dual_add_f32 v20, v50, v45 :: v_dual_add_f32 v25, v35, v50
	v_sub_f32_e32 v37, v47, v49
	v_dual_add_f32 v47, v52, v51 :: v_dual_sub_f32 v46, v46, v48
	s_delay_alu instid0(VALU_DEP_3) | instskip(NEXT) | instid1(VALU_DEP_4)
	v_fmac_f32_e32 v35, -0.5, v20
	v_dual_add_f32 v20, v34, v52 :: v_dual_add_f32 v45, v25, v45
	s_delay_alu instid0(VALU_DEP_3) | instskip(SKIP_1) | instid1(VALU_DEP_4)
	v_fmac_f32_e32 v34, -0.5, v47
	v_dual_add_f32 v25, v13, v11 :: v_dual_sub_f32 v14, v14, v41
	v_fmamk_f32 v47, v37, 0x3f5db3d7, v35
	v_fmac_f32_e32 v35, 0xbf5db3d7, v37
	s_delay_alu instid0(VALU_DEP_4) | instskip(SKIP_3) | instid1(VALU_DEP_2)
	v_fmamk_f32 v37, v46, 0x3f5db3d7, v34
	v_fmac_f32_e32 v34, 0xbf5db3d7, v46
	v_dual_add_f32 v46, v16, v12 :: v_dual_add_f32 v13, v33, v13
	v_dual_add_f32 v16, v18, v16 :: v_dual_fmac_f32 v33, -0.5, v25
	v_dual_sub_f32 v15, v15, v44 :: v_dual_fmac_f32 v18, -0.5, v46
	s_delay_alu instid0(VALU_DEP_3) | instskip(NEXT) | instid1(VALU_DEP_3)
	v_add_f32_e32 v11, v13, v11
	v_add_f32_e32 v25, v16, v12
	s_delay_alu instid0(VALU_DEP_4)
	v_fmamk_f32 v13, v14, 0x3f5db3d7, v33
	v_fmac_f32_e32 v33, 0xbf5db3d7, v14
	v_fmamk_f32 v41, v15, 0x3f5db3d7, v18
	v_fmac_f32_e32 v18, 0xbf5db3d7, v15
	v_add_f32_e32 v20, v20, v51
	global_wb scope:SCOPE_SE
	s_wait_dscnt 0x0
	s_barrier_signal -1
	s_barrier_wait -1
	global_inv scope:SCOPE_SE
	ds_store_2addr_b32 v39, v45, v47 offset1:50
	ds_store_b32 v39, v35 offset:400
	ds_store_2addr_b32 v42, v20, v37 offset1:50
	ds_store_b32 v42, v34 offset:400
	;; [unrolled: 2-line block ×3, first 2 shown]
	s_and_saveexec_b32 s1, s0
	s_cbranch_execz .LBB0_23
; %bb.22:
	v_add_nc_u32_e32 v11, 0x1000, v38
	ds_store_2addr_b32 v11, v25, v41 offset0:176 offset1:226
	ds_store_b32 v38, v18 offset:5200
.LBB0_23:
	s_wait_alu 0xfffe
	s_or_b32 exec_lo, exec_lo, s1
	v_add_nc_u32_e32 v11, 0x600, v30
	v_add_nc_u32_e32 v12, 0xb00, v30
	;; [unrolled: 1-line block ×3, first 2 shown]
	global_wb scope:SCOPE_SE
	s_wait_dscnt 0x0
	s_barrier_signal -1
	s_barrier_wait -1
	global_inv scope:SCOPE_SE
	ds_load_2addr_b32 v[15:16], v11 offset0:66 offset1:201
	ds_load_2addr_b32 v[13:14], v12 offset0:16 offset1:196
	;; [unrolled: 1-line block ×3, first 2 shown]
	ds_load_b32 v39, v30
	ds_load_b32 v38, v31
	;; [unrolled: 1-line block ×3, first 2 shown]
	s_and_saveexec_b32 s1, s0
	s_cbranch_execz .LBB0_25
; %bb.24:
	ds_load_b32 v25, v0
	ds_load_b32 v41, v30 offset:3420
	ds_load_b32 v18, v30 offset:5220
.LBB0_25:
	s_wait_alu 0xfffe
	s_or_b32 exec_lo, exec_lo, s1
	v_dual_mov_b32 v33, 0 :: v_dual_add_nc_u32 v20, -15, v26
	v_cmp_gt_u32_e64 s1, 15, v26
	v_mul_u32_u24_e32 v34, 0xda75, v32
	v_lshlrev_b32_e32 v32, 1, v26
	s_wait_alu 0xf1ff
	s_delay_alu instid0(VALU_DEP_3) | instskip(NEXT) | instid1(VALU_DEP_3)
	v_cndmask_b32_e64 v44, v20, v29, s1
	v_lshrrev_b32_e32 v45, 22, v34
	v_mul_u32_u24_e32 v34, 0xda75, v19
	v_lshlrev_b64_e32 v[19:20], 3, v[32:33]
	s_delay_alu instid0(VALU_DEP_4) | instskip(NEXT) | instid1(VALU_DEP_4)
	v_lshlrev_b32_e32 v32, 1, v44
	v_mul_lo_u16 v35, 0x96, v45
	s_delay_alu instid0(VALU_DEP_4)
	v_lshrrev_b32_e32 v34, 22, v34
	v_mul_u32_u24_e32 v45, 0x708, v45
	v_add_co_u32 v19, s1, s4, v19
	v_lshlrev_b64_e32 v[42:43], 3, v[32:33]
	s_wait_alu 0xf1ff
	v_add_co_ci_u32_e64 v20, s1, s5, v20, s1
	v_mul_lo_u16 v46, 0x96, v34
	v_sub_nc_u16 v47, v28, v35
	s_delay_alu instid0(VALU_DEP_4)
	v_add_co_u32 v42, s1, s4, v42
	global_load_b128 v[32:35], v[19:20], off offset:1160
	s_wait_alu 0xf1ff
	v_add_co_ci_u32_e64 v43, s1, s5, v43, s1
	v_sub_nc_u16 v46, v27, v46
	v_cmp_lt_u32_e64 s1, 14, v26
	global_load_b128 v[52:55], v[42:43], off offset:1160
	v_and_b32_e32 v47, 0xffff, v47
	v_and_b32_e32 v42, 0xffff, v46
	v_lshlrev_b32_e32 v44, 2, v44
	s_delay_alu instid0(VALU_DEP_2) | instskip(SKIP_4) | instid1(VALU_DEP_2)
	v_lshlrev_b32_e32 v46, 4, v42
	s_wait_loadcnt_dscnt 0x105
	v_dual_mul_f32 v48, v15, v33 :: v_dual_lshlrev_b32 v43, 4, v47
	v_mul_f32_e32 v33, v9, v33
	s_wait_loadcnt_dscnt 0x3
	v_dual_fmac_f32 v48, v9, v32 :: v_dual_mul_f32 v49, v11, v55
	s_clause 0x1
	global_load_b128 v[56:59], v43, s[4:5] offset:1160
	global_load_b128 v[60:63], v46, s[4:5] offset:1160
	v_mul_f32_e32 v50, v14, v35
	s_wait_alu 0xf1ff
	v_cndmask_b32_e64 v43, 0, 0x708, s1
	v_mul_f32_e32 v35, v8, v35
	v_mul_f32_e32 v9, v5, v55
	v_fma_f32 v51, v15, v32, -v33
	v_add_f32_e32 v32, v40, v48
	v_add3_u32 v43, 0, v43, v44
	v_fma_f32 v46, v14, v34, -v35
	v_dual_mul_f32 v47, v16, v53 :: v_dual_lshlrev_b32 v44, 2, v47
	v_lshl_add_u32 v42, v42, 2, 0
	global_wb scope:SCOPE_SE
	s_wait_loadcnt_dscnt 0x0
	v_sub_f32_e32 v35, v51, v46
	v_add3_u32 v44, 0, v45, v44
	s_barrier_signal -1
	s_barrier_wait -1
	global_inv scope:SCOPE_SE
	v_dual_mul_f32 v55, v7, v57 :: v_dual_fmac_f32 v50, v8, v34
	v_dual_mul_f32 v14, v13, v57 :: v_dual_mul_f32 v45, v18, v63
	v_mul_f32_e32 v57, v6, v59
	v_dual_mul_f32 v8, v10, v53 :: v_dual_mul_f32 v33, v12, v59
	s_delay_alu instid0(VALU_DEP_4) | instskip(SKIP_2) | instid1(VALU_DEP_4)
	v_dual_add_f32 v34, v48, v50 :: v_dual_mul_f32 v59, v22, v61
	v_mul_f32_e32 v15, v41, v61
	v_mul_f32_e32 v61, v17, v63
	v_fma_f32 v53, v16, v52, -v8
	s_delay_alu instid0(VALU_DEP_4) | instskip(SKIP_2) | instid1(VALU_DEP_3)
	v_dual_fmac_f32 v40, -0.5, v34 :: v_dual_fmac_f32 v47, v10, v52
	v_dual_fmac_f32 v49, v5, v54 :: v_dual_fmac_f32 v14, v7, v56
	v_fma_f32 v52, v11, v54, -v9
	v_fmamk_f32 v7, v35, 0xbf5db3d7, v40
	v_dual_fmac_f32 v40, 0x3f5db3d7, v35 :: v_dual_fmac_f32 v33, v6, v58
	v_dual_add_f32 v8, v36, v47 :: v_dual_fmac_f32 v15, v22, v60
	v_fmac_f32_e32 v45, v17, v62
	v_dual_add_f32 v5, v32, v50 :: v_dual_sub_f32 v10, v53, v52
	v_fma_f32 v16, v13, v56, -v55
	v_fma_f32 v6, v12, v58, -v57
	;; [unrolled: 1-line block ×4, first 2 shown]
	v_add_f32_e32 v12, v14, v33
	v_dual_add_f32 v8, v8, v49 :: v_dual_add_f32 v11, v21, v14
	v_add_f32_e32 v32, v15, v45
	v_add_f32_e32 v9, v47, v49
	v_dual_sub_f32 v17, v16, v6 :: v_dual_sub_f32 v34, v22, v13
	v_dual_add_f32 v18, v24, v15 :: v_dual_fmac_f32 v21, -0.5, v12
	s_delay_alu instid0(VALU_DEP_4) | instskip(NEXT) | instid1(VALU_DEP_4)
	v_fmac_f32_e32 v24, -0.5, v32
	v_fmac_f32_e32 v36, -0.5, v9
	ds_store_2addr_b32 v30, v5, v7 offset1:150
	ds_store_b32 v30, v40 offset:1200
	v_add_f32_e32 v7, v11, v33
	v_add_f32_e32 v5, v18, v45
	v_fmamk_f32 v32, v34, 0xbf5db3d7, v24
	v_fmamk_f32 v9, v10, 0xbf5db3d7, v36
	v_fmac_f32_e32 v36, 0x3f5db3d7, v10
	v_fmamk_f32 v10, v17, 0xbf5db3d7, v21
	v_dual_fmac_f32 v21, 0x3f5db3d7, v17 :: v_dual_fmac_f32 v24, 0x3f5db3d7, v34
	ds_store_2addr_b32 v43, v8, v9 offset1:150
	ds_store_b32 v43, v36 offset:1200
	ds_store_2addr_b32 v44, v7, v10 offset1:150
	ds_store_b32 v44, v21 offset:1200
	s_and_saveexec_b32 s1, s0
	s_cbranch_execz .LBB0_27
; %bb.26:
	v_add_nc_u32_e32 v7, 0xe00, v42
	ds_store_2addr_b32 v7, v5, v32 offset0:4 offset1:154
	ds_store_b32 v42, v24 offset:4800
.LBB0_27:
	s_wait_alu 0xfffe
	s_or_b32 exec_lo, exec_lo, s1
	v_add_nc_u32_e32 v7, 0x600, v30
	v_add_nc_u32_e32 v9, 0xb00, v30
	;; [unrolled: 1-line block ×3, first 2 shown]
	global_wb scope:SCOPE_SE
	s_wait_dscnt 0x0
	s_barrier_signal -1
	s_barrier_wait -1
	global_inv scope:SCOPE_SE
	ds_load_2addr_b32 v[7:8], v7 offset0:66 offset1:201
	ds_load_2addr_b32 v[11:12], v9 offset0:16 offset1:196
	;; [unrolled: 1-line block ×3, first 2 shown]
	ds_load_b32 v35, v30
	ds_load_b32 v34, v31
	;; [unrolled: 1-line block ×3, first 2 shown]
	s_and_saveexec_b32 s1, s0
	s_cbranch_execz .LBB0_29
; %bb.28:
	ds_load_b32 v5, v0
	ds_load_b32 v32, v30 offset:3420
	ds_load_b32 v24, v30 offset:5220
.LBB0_29:
	s_wait_alu 0xfffe
	s_or_b32 exec_lo, exec_lo, s1
	v_dual_add_f32 v17, v51, v46 :: v_dual_add_f32 v40, v53, v52
	v_dual_add_f32 v18, v39, v51 :: v_dual_sub_f32 v21, v48, v50
	v_sub_f32_e32 v14, v14, v33
	s_delay_alu instid0(VALU_DEP_3) | instskip(NEXT) | instid1(VALU_DEP_4)
	v_fmac_f32_e32 v39, -0.5, v17
	v_dual_add_f32 v17, v38, v53 :: v_dual_fmac_f32 v38, -0.5, v40
	s_delay_alu instid0(VALU_DEP_4) | instskip(NEXT) | instid1(VALU_DEP_3)
	v_dual_add_f32 v18, v18, v46 :: v_dual_sub_f32 v41, v47, v49
	v_fmamk_f32 v40, v21, 0x3f5db3d7, v39
	v_fmac_f32_e32 v39, 0xbf5db3d7, v21
	s_delay_alu instid0(VALU_DEP_4) | instskip(NEXT) | instid1(VALU_DEP_4)
	v_add_f32_e32 v17, v17, v52
	v_dual_add_f32 v21, v16, v6 :: v_dual_fmamk_f32 v46, v41, 0x3f5db3d7, v38
	v_fmac_f32_e32 v38, 0xbf5db3d7, v41
	v_dual_add_f32 v16, v37, v16 :: v_dual_add_f32 v41, v22, v13
	s_delay_alu instid0(VALU_DEP_3) | instskip(SKIP_1) | instid1(VALU_DEP_3)
	v_fmac_f32_e32 v37, -0.5, v21
	v_add_f32_e32 v21, v25, v22
	v_dual_sub_f32 v15, v15, v45 :: v_dual_add_f32 v16, v16, v6
	s_delay_alu instid0(VALU_DEP_4) | instskip(NEXT) | instid1(VALU_DEP_4)
	v_fmac_f32_e32 v25, -0.5, v41
	v_fmamk_f32 v22, v14, 0x3f5db3d7, v37
	s_delay_alu instid0(VALU_DEP_4)
	v_dual_fmac_f32 v37, 0xbf5db3d7, v14 :: v_dual_add_f32 v6, v21, v13
	global_wb scope:SCOPE_SE
	s_wait_dscnt 0x0
	v_fmamk_f32 v33, v15, 0x3f5db3d7, v25
	v_fmac_f32_e32 v25, 0xbf5db3d7, v15
	s_barrier_signal -1
	s_barrier_wait -1
	global_inv scope:SCOPE_SE
	ds_store_2addr_b32 v30, v18, v40 offset1:150
	ds_store_b32 v30, v39 offset:1200
	ds_store_2addr_b32 v43, v17, v46 offset1:150
	ds_store_b32 v43, v38 offset:1200
	;; [unrolled: 2-line block ×3, first 2 shown]
	s_and_saveexec_b32 s1, s0
	s_cbranch_execz .LBB0_31
; %bb.30:
	v_add_nc_u32_e32 v13, 0xe00, v42
	ds_store_2addr_b32 v13, v6, v33 offset0:4 offset1:154
	ds_store_b32 v42, v25 offset:4800
.LBB0_31:
	s_wait_alu 0xfffe
	s_or_b32 exec_lo, exec_lo, s1
	v_add_nc_u32_e32 v13, 0x600, v30
	v_add_nc_u32_e32 v14, 0xb00, v30
	;; [unrolled: 1-line block ×3, first 2 shown]
	global_wb scope:SCOPE_SE
	s_wait_dscnt 0x0
	s_barrier_signal -1
	s_barrier_wait -1
	global_inv scope:SCOPE_SE
	ds_load_2addr_b32 v[15:16], v13 offset0:66 offset1:201
	ds_load_2addr_b32 v[21:22], v14 offset0:16 offset1:196
	;; [unrolled: 1-line block ×3, first 2 shown]
	ds_load_b32 v37, v30
	ds_load_b32 v31, v31
	;; [unrolled: 1-line block ×3, first 2 shown]
	s_and_saveexec_b32 s1, s0
	s_cbranch_execz .LBB0_33
; %bb.32:
	ds_load_b32 v6, v0
	ds_load_b32 v33, v30 offset:3420
	ds_load_b32 v25, v30 offset:5220
.LBB0_33:
	s_wait_alu 0xfffe
	s_or_b32 exec_lo, exec_lo, s1
	s_and_saveexec_b32 s1, vcc_lo
	s_cbranch_execz .LBB0_36
; %bb.34:
	v_dual_mov_b32 v14, 0 :: v_dual_lshlrev_b32 v13, 1, v28
	v_mul_hi_u32 v0, 0x91a2b3c5, v26
	s_delay_alu instid0(VALU_DEP_2) | instskip(SKIP_1) | instid1(VALU_DEP_3)
	v_lshlrev_b64_e32 v[38:39], 3, v[13:14]
	v_lshlrev_b32_e32 v13, 1, v29
	v_lshrrev_b32_e32 v50, 8, v0
	v_lshlrev_b64_e32 v[0:1], 3, v[1:2]
	s_delay_alu instid0(VALU_DEP_4)
	v_add_co_u32 v28, vcc_lo, s4, v38
	s_wait_alu 0xfffd
	v_add_co_ci_u32_e32 v29, vcc_lo, s5, v39, vcc_lo
	v_lshlrev_b64_e32 v[46:47], 3, v[13:14]
	v_mul_lo_u32 v13, s3, v3
	s_clause 0x1
	global_load_b128 v[38:41], v[28:29], off offset:3560
	global_load_b128 v[42:45], v[19:20], off offset:3560
	v_add_nc_u32_e32 v28, 0x10e, v26
	v_add_co_u32 v19, vcc_lo, s4, v46
	s_wait_alu 0xfffd
	v_add_co_ci_u32_e32 v20, vcc_lo, s5, v47, vcc_lo
	s_delay_alu instid0(VALU_DEP_3)
	v_mul_hi_u32 v30, 0x91a2b3c5, v28
	global_load_b128 v[46:49], v[19:20], off offset:3560
	v_add_nc_u32_e32 v20, 0x87, v26
	v_mul_lo_u32 v19, s2, v4
	v_mad_co_u64_u32 v[3:4], null, s2, v3, 0
	v_lshrrev_b32_e32 v30, 8, v30
	s_delay_alu instid0(VALU_DEP_4) | instskip(NEXT) | instid1(VALU_DEP_3)
	v_mul_hi_u32 v29, 0x91a2b3c5, v20
	v_add3_u32 v4, v4, v19, v13
	v_mul_u32_u24_e32 v13, 0x1c2, v50
	s_delay_alu instid0(VALU_DEP_4) | instskip(NEXT) | instid1(VALU_DEP_4)
	v_mul_u32_u24_e32 v50, 0x1c2, v30
	v_lshrrev_b32_e32 v29, 8, v29
	s_delay_alu instid0(VALU_DEP_4) | instskip(NEXT) | instid1(VALU_DEP_4)
	v_lshlrev_b64_e32 v[3:4], 3, v[3:4]
	v_sub_nc_u32_e32 v13, v26, v13
	s_delay_alu instid0(VALU_DEP_4) | instskip(NEXT) | instid1(VALU_DEP_4)
	v_sub_nc_u32_e32 v50, v28, v50
	v_mul_u32_u24_e32 v19, 0x1c2, v29
	s_delay_alu instid0(VALU_DEP_4) | instskip(NEXT) | instid1(VALU_DEP_2)
	v_add_co_u32 v51, s1, s10, v3
	v_sub_nc_u32_e32 v53, v20, v19
	s_delay_alu instid0(VALU_DEP_4)
	v_mad_u32_u24 v66, 0x546, v30, v50
	s_wait_alu 0xf1fe
	v_add_co_ci_u32_e64 v52, s1, s11, v4, s1
	v_add_co_u32 v0, s1, v51, v0
	v_mad_u32_u24 v65, 0x546, v29, v53
	v_add_nc_u32_e32 v69, 0x1c2, v66
	v_mad_co_u64_u32 v[3:4], null, s16, v13, 0
	s_wait_alu 0xf1ff
	v_add_co_ci_u32_e64 v1, s1, v52, v1, s1
	v_mad_co_u64_u32 v[50:51], null, s16, v65, 0
	v_add_nc_u32_e32 v63, 0x1c2, v13
	v_mad_co_u64_u32 v[59:60], null, s16, v69, 0
	v_add_nc_u32_e32 v64, 0x384, v13
	v_mad_co_u64_u32 v[54:55], null, s17, v13, v[4:5]
	s_delay_alu instid0(VALU_DEP_4) | instskip(NEXT) | instid1(VALU_DEP_3)
	v_mad_co_u64_u32 v[19:20], null, s16, v63, 0
	v_mad_co_u64_u32 v[28:29], null, s16, v64, 0
	;; [unrolled: 1-line block ×3, first 2 shown]
	s_delay_alu instid0(VALU_DEP_3) | instskip(NEXT) | instid1(VALU_DEP_3)
	v_dual_mov_b32 v4, v20 :: v_dual_add_nc_u32 v67, 0x1c2, v65
	v_dual_mov_b32 v20, v51 :: v_dual_mov_b32 v13, v29
	s_delay_alu instid0(VALU_DEP_2) | instskip(SKIP_1) | instid1(VALU_DEP_3)
	v_mad_co_u64_u32 v[29:30], null, s17, v63, v[4:5]
	v_mov_b32_e32 v4, v54
	v_mad_co_u64_u32 v[63:64], null, s17, v64, v[13:14]
	v_dual_mov_b32 v13, v53 :: v_dual_add_nc_u32 v68, 0x384, v65
	s_wait_dscnt 0x4
	v_mad_co_u64_u32 v[53:54], null, s17, v65, v[20:21]
	v_mov_b32_e32 v20, v29
	s_delay_alu instid0(VALU_DEP_4)
	v_dual_mov_b32 v29, v63 :: v_dual_add_nc_u32 v70, 0x384, v66
	v_mad_co_u64_u32 v[57:58], null, s16, v68, 0
	v_add_nc_u32_e32 v2, 0x195, v26
	v_mad_co_u64_u32 v[55:56], null, s16, v67, 0
	v_mad_co_u64_u32 v[64:65], null, s17, v66, v[13:14]
	v_mov_b32_e32 v13, v60
	v_mov_b32_e32 v51, v58
	v_lshlrev_b64_e32 v[3:4], 3, v[3:4]
	v_lshlrev_b64_e32 v[28:29], 3, v[28:29]
	v_mov_b32_e32 v30, v56
	v_cmp_gt_u32_e32 vcc_lo, 0x1c2, v2
	v_mad_co_u64_u32 v[65:66], null, s17, v68, v[51:52]
	v_mov_b32_e32 v51, v53
	v_mad_co_u64_u32 v[61:62], null, s16, v70, 0
	v_mov_b32_e32 v53, v64
	v_add_co_u32 v3, s1, v0, v3
	v_mov_b32_e32 v58, v65
	s_wait_alu 0xf1ff
	v_add_co_ci_u32_e64 v4, s1, v1, v4, s1
	v_mov_b32_e32 v54, v62
	s_wait_dscnt 0x1
	v_mad_co_u64_u32 v[62:63], null, s17, v67, v[30:31]
	v_mad_co_u64_u32 v[66:67], null, s17, v69, v[13:14]
	s_delay_alu instid0(VALU_DEP_3)
	v_mad_co_u64_u32 v[67:68], null, s17, v70, v[54:55]
	v_lshlrev_b64_e32 v[50:51], 3, v[50:51]
	v_lshlrev_b64_e32 v[52:53], 3, v[52:53]
	v_mov_b32_e32 v56, v62
	v_mov_b32_e32 v60, v66
	;; [unrolled: 1-line block ×3, first 2 shown]
	s_wait_loadcnt 0x2
	v_dual_mul_f32 v13, v11, v39 :: v_dual_mul_f32 v30, v10, v41
	v_mul_f32_e32 v39, v21, v39
	v_lshlrev_b64_e32 v[54:55], 3, v[55:56]
	v_mul_f32_e32 v41, v18, v41
	v_lshlrev_b64_e32 v[56:57], 3, v[57:58]
	s_wait_loadcnt 0x1
	v_mul_f32_e32 v63, v12, v45
	v_lshlrev_b64_e32 v[58:59], 3, v[59:60]
	v_mul_f32_e32 v45, v22, v45
	v_lshlrev_b64_e32 v[60:61], 3, v[61:62]
	v_dual_mul_f32 v62, v7, v43 :: v_dual_fmac_f32 v41, v10, v40
	v_mul_f32_e32 v43, v15, v43
	v_fma_f32 v13, v21, v38, -v13
	v_fma_f32 v18, v18, v40, -v30
	v_lshlrev_b64_e32 v[19:20], 3, v[19:20]
	s_wait_loadcnt 0x0
	v_dual_fmac_f32 v39, v11, v38 :: v_dual_mul_f32 v10, v8, v47
	v_dual_mul_f32 v21, v16, v47 :: v_dual_mul_f32 v30, v17, v49
	v_fma_f32 v15, v15, v42, -v62
	v_fma_f32 v22, v22, v44, -v63
	v_fmac_f32_e32 v43, v7, v42
	v_dual_fmac_f32 v45, v12, v44 :: v_dual_sub_f32 v38, v39, v41
	s_wait_dscnt 0x0
	v_dual_add_f32 v7, v13, v18 :: v_dual_add_f32 v12, v23, v13
	v_mul_f32_e32 v11, v9, v49
	v_add_co_u32 v19, s1, v0, v19
	v_fma_f32 v16, v16, v46, -v10
	s_delay_alu instid0(VALU_DEP_4) | instskip(NEXT) | instid1(VALU_DEP_4)
	v_add_f32_e32 v10, v12, v18
	v_fma_f32 v42, v17, v48, -v11
	v_dual_fmac_f32 v30, v9, v48 :: v_dual_fmac_f32 v21, v8, v46
	v_add_f32_e32 v46, v43, v45
	v_fma_f32 v8, -0.5, v7, v23
	v_add_f32_e32 v11, v15, v22
	s_wait_alu 0xf1ff
	v_add_co_ci_u32_e64 v20, s1, v1, v20, s1
	v_add_co_u32 v28, s1, v0, v28
	s_wait_alu 0xf1ff
	v_add_co_ci_u32_e64 v29, s1, v1, v29, s1
	v_add_co_u32 v50, s1, v0, v50
	v_dual_add_f32 v40, v39, v41 :: v_dual_sub_f32 v13, v13, v18
	v_dual_add_f32 v39, v36, v39 :: v_dual_sub_f32 v44, v43, v45
	v_fmamk_f32 v18, v38, 0xbf5db3d7, v8
	v_fma_f32 v12, -0.5, v11, v37
	s_wait_alu 0xf1ff
	v_add_co_ci_u32_e64 v51, s1, v1, v51, s1
	v_add_co_u32 v52, s1, v0, v52
	s_wait_alu 0xf1ff
	v_add_co_ci_u32_e64 v53, s1, v1, v53, s1
	v_dual_add_f32 v17, v37, v15 :: v_dual_fmac_f32 v8, 0x3f5db3d7, v38
	v_sub_f32_e32 v47, v15, v22
	v_add_f32_e32 v15, v35, v43
	v_fma_f32 v7, -0.5, v40, v36
	v_dual_sub_f32 v36, v21, v30 :: v_dual_add_f32 v9, v39, v41
	v_add_f32_e32 v40, v21, v30
	v_fma_f32 v11, -0.5, v46, v35
	v_fmamk_f32 v35, v44, 0xbf5db3d7, v12
	v_dual_fmac_f32 v12, 0x3f5db3d7, v44 :: v_dual_add_f32 v23, v16, v42
	v_add_co_u32 v54, s1, v0, v54
	s_wait_alu 0xf1ff
	v_add_co_ci_u32_e64 v55, s1, v1, v55, s1
	v_add_co_u32 v56, s1, v0, v56
	v_add_f32_e32 v39, v31, v16
	v_sub_f32_e32 v41, v16, v42
	v_dual_add_f32 v43, v34, v21 :: v_dual_add_f32 v16, v17, v22
	v_fma_f32 v21, -0.5, v40, v34
	v_fmamk_f32 v34, v47, 0x3f5db3d7, v11
	v_fma_f32 v22, -0.5, v23, v31
	s_wait_alu 0xf1ff
	v_add_co_ci_u32_e64 v57, s1, v1, v57, s1
	v_add_co_u32 v58, s1, v0, v58
	v_add_f32_e32 v15, v15, v45
	v_fmac_f32_e32 v11, 0xbf5db3d7, v47
	s_wait_alu 0xf1ff
	v_add_co_ci_u32_e64 v59, s1, v1, v59, s1
	v_add_co_u32 v60, s1, v0, v60
	v_add_f32_e32 v31, v39, v42
	v_fmamk_f32 v37, v36, 0xbf5db3d7, v22
	v_fmac_f32_e32 v22, 0x3f5db3d7, v36
	v_fmamk_f32 v36, v41, 0x3f5db3d7, v21
	v_dual_fmamk_f32 v17, v13, 0x3f5db3d7, v7 :: v_dual_add_f32 v30, v43, v30
	v_fmac_f32_e32 v21, 0xbf5db3d7, v41
	s_wait_alu 0xf1ff
	v_add_co_ci_u32_e64 v61, s1, v1, v61, s1
	v_fmac_f32_e32 v7, 0xbf5db3d7, v13
	s_clause 0x8
	global_store_b64 v[3:4], v[15:16], off
	global_store_b64 v[19:20], v[11:12], off
	;; [unrolled: 1-line block ×9, first 2 shown]
	s_and_b32 exec_lo, exec_lo, vcc_lo
	s_cbranch_execz .LBB0_36
; %bb.35:
	v_subrev_nc_u32_e32 v3, 45, v26
	v_add_nc_u32_e32 v17, 0x357, v26
	s_delay_alu instid0(VALU_DEP_2) | instskip(NEXT) | instid1(VALU_DEP_2)
	v_cndmask_b32_e64 v3, v3, v27, s0
	v_mad_co_u64_u32 v[11:12], null, s16, v17, 0
	s_delay_alu instid0(VALU_DEP_2) | instskip(NEXT) | instid1(VALU_DEP_1)
	v_lshlrev_b32_e32 v13, 1, v3
	v_lshlrev_b64_e32 v[3:4], 3, v[13:14]
	s_delay_alu instid0(VALU_DEP_1) | instskip(SKIP_1) | instid1(VALU_DEP_2)
	v_add_co_u32 v3, vcc_lo, s4, v3
	s_wait_alu 0xfffd
	v_add_co_ci_u32_e32 v4, vcc_lo, s5, v4, vcc_lo
	global_load_b128 v[7:10], v[3:4], off offset:3560
	v_mad_co_u64_u32 v[3:4], null, s16, v2, 0
	v_add_nc_u32_e32 v18, 0x519, v26
	s_delay_alu instid0(VALU_DEP_1) | instskip(NEXT) | instid1(VALU_DEP_3)
	v_mad_co_u64_u32 v[13:14], null, s16, v18, 0
	v_mad_co_u64_u32 v[15:16], null, s17, v2, v[4:5]
	s_delay_alu instid0(VALU_DEP_2) | instskip(NEXT) | instid1(VALU_DEP_2)
	v_mad_co_u64_u32 v[16:17], null, s17, v17, v[12:13]
	v_mov_b32_e32 v4, v15
	s_delay_alu instid0(VALU_DEP_4) | instskip(NEXT) | instid1(VALU_DEP_2)
	v_mad_co_u64_u32 v[17:18], null, s17, v18, v[14:15]
	v_lshlrev_b64_e32 v[2:3], 3, v[3:4]
	s_delay_alu instid0(VALU_DEP_4) | instskip(NEXT) | instid1(VALU_DEP_1)
	v_mov_b32_e32 v12, v16
	v_lshlrev_b64_e32 v[11:12], 3, v[11:12]
	s_delay_alu instid0(VALU_DEP_3) | instskip(SKIP_1) | instid1(VALU_DEP_4)
	v_add_co_u32 v2, vcc_lo, v0, v2
	s_wait_alu 0xfffd
	v_add_co_ci_u32_e32 v3, vcc_lo, v1, v3, vcc_lo
	s_wait_loadcnt 0x0
	v_mul_f32_e32 v4, v33, v8
	v_dual_mul_f32 v8, v32, v8 :: v_dual_mul_f32 v15, v25, v10
	s_delay_alu instid0(VALU_DEP_2) | instskip(NEXT) | instid1(VALU_DEP_2)
	v_fmac_f32_e32 v4, v32, v7
	v_fma_f32 v7, v33, v7, -v8
	v_mul_f32_e32 v16, v24, v10
	s_delay_alu instid0(VALU_DEP_4) | instskip(SKIP_1) | instid1(VALU_DEP_3)
	v_dual_fmac_f32 v15, v24, v9 :: v_dual_mov_b32 v14, v17
	v_add_co_u32 v10, vcc_lo, v0, v11
	v_fma_f32 v8, v25, v9, -v16
	s_delay_alu instid0(VALU_DEP_3) | instskip(NEXT) | instid1(VALU_DEP_4)
	v_add_f32_e32 v9, v4, v15
	v_lshlrev_b64_e32 v[13:14], 3, v[13:14]
	s_wait_alu 0xfffd
	v_add_co_ci_u32_e32 v11, vcc_lo, v1, v12, vcc_lo
	v_add_f32_e32 v16, v6, v7
	s_delay_alu instid0(VALU_DEP_3) | instskip(SKIP_3) | instid1(VALU_DEP_2)
	v_add_co_u32 v0, vcc_lo, v0, v13
	v_add_f32_e32 v13, v7, v8
	s_wait_alu 0xfffd
	v_add_co_ci_u32_e32 v1, vcc_lo, v1, v14, vcc_lo
	v_fmac_f32_e32 v6, -0.5, v13
	v_add_f32_e32 v12, v5, v4
	v_dual_sub_f32 v14, v7, v8 :: v_dual_fmac_f32 v5, -0.5, v9
	v_add_f32_e32 v8, v16, v8
	s_delay_alu instid0(VALU_DEP_2) | instskip(SKIP_1) | instid1(VALU_DEP_1)
	v_dual_add_f32 v7, v12, v15 :: v_dual_fmamk_f32 v12, v14, 0xbf5db3d7, v5
	v_dual_fmac_f32 v5, 0x3f5db3d7, v14 :: v_dual_sub_f32 v4, v4, v15
	v_fmamk_f32 v13, v4, 0x3f5db3d7, v6
	v_fmac_f32_e32 v6, 0xbf5db3d7, v4
	s_clause 0x2
	global_store_b64 v[2:3], v[7:8], off
	global_store_b64 v[10:11], v[12:13], off
	;; [unrolled: 1-line block ×3, first 2 shown]
.LBB0_36:
	s_nop 0
	s_sendmsg sendmsg(MSG_DEALLOC_VGPRS)
	s_endpgm
	.section	.rodata,"a",@progbits
	.p2align	6, 0x0
	.amdhsa_kernel fft_rtc_back_len1350_factors_5_10_3_3_3_wgs_135_tpt_135_halfLds_sp_op_CI_CI_sbrr_dirReg
		.amdhsa_group_segment_fixed_size 0
		.amdhsa_private_segment_fixed_size 0
		.amdhsa_kernarg_size 104
		.amdhsa_user_sgpr_count 2
		.amdhsa_user_sgpr_dispatch_ptr 0
		.amdhsa_user_sgpr_queue_ptr 0
		.amdhsa_user_sgpr_kernarg_segment_ptr 1
		.amdhsa_user_sgpr_dispatch_id 0
		.amdhsa_user_sgpr_private_segment_size 0
		.amdhsa_wavefront_size32 1
		.amdhsa_uses_dynamic_stack 0
		.amdhsa_enable_private_segment 0
		.amdhsa_system_sgpr_workgroup_id_x 1
		.amdhsa_system_sgpr_workgroup_id_y 0
		.amdhsa_system_sgpr_workgroup_id_z 0
		.amdhsa_system_sgpr_workgroup_info 0
		.amdhsa_system_vgpr_workitem_id 0
		.amdhsa_next_free_vgpr 71
		.amdhsa_next_free_sgpr 43
		.amdhsa_reserve_vcc 1
		.amdhsa_float_round_mode_32 0
		.amdhsa_float_round_mode_16_64 0
		.amdhsa_float_denorm_mode_32 3
		.amdhsa_float_denorm_mode_16_64 3
		.amdhsa_fp16_overflow 0
		.amdhsa_workgroup_processor_mode 1
		.amdhsa_memory_ordered 1
		.amdhsa_forward_progress 0
		.amdhsa_round_robin_scheduling 0
		.amdhsa_exception_fp_ieee_invalid_op 0
		.amdhsa_exception_fp_denorm_src 0
		.amdhsa_exception_fp_ieee_div_zero 0
		.amdhsa_exception_fp_ieee_overflow 0
		.amdhsa_exception_fp_ieee_underflow 0
		.amdhsa_exception_fp_ieee_inexact 0
		.amdhsa_exception_int_div_zero 0
	.end_amdhsa_kernel
	.text
.Lfunc_end0:
	.size	fft_rtc_back_len1350_factors_5_10_3_3_3_wgs_135_tpt_135_halfLds_sp_op_CI_CI_sbrr_dirReg, .Lfunc_end0-fft_rtc_back_len1350_factors_5_10_3_3_3_wgs_135_tpt_135_halfLds_sp_op_CI_CI_sbrr_dirReg
                                        ; -- End function
	.section	.AMDGPU.csdata,"",@progbits
; Kernel info:
; codeLenInByte = 9608
; NumSgprs: 45
; NumVgprs: 71
; ScratchSize: 0
; MemoryBound: 0
; FloatMode: 240
; IeeeMode: 1
; LDSByteSize: 0 bytes/workgroup (compile time only)
; SGPRBlocks: 5
; VGPRBlocks: 8
; NumSGPRsForWavesPerEU: 45
; NumVGPRsForWavesPerEU: 71
; Occupancy: 15
; WaveLimiterHint : 1
; COMPUTE_PGM_RSRC2:SCRATCH_EN: 0
; COMPUTE_PGM_RSRC2:USER_SGPR: 2
; COMPUTE_PGM_RSRC2:TRAP_HANDLER: 0
; COMPUTE_PGM_RSRC2:TGID_X_EN: 1
; COMPUTE_PGM_RSRC2:TGID_Y_EN: 0
; COMPUTE_PGM_RSRC2:TGID_Z_EN: 0
; COMPUTE_PGM_RSRC2:TIDIG_COMP_CNT: 0
	.text
	.p2alignl 7, 3214868480
	.fill 96, 4, 3214868480
	.type	__hip_cuid_d5072f497e87958a,@object ; @__hip_cuid_d5072f497e87958a
	.section	.bss,"aw",@nobits
	.globl	__hip_cuid_d5072f497e87958a
__hip_cuid_d5072f497e87958a:
	.byte	0                               ; 0x0
	.size	__hip_cuid_d5072f497e87958a, 1

	.ident	"AMD clang version 19.0.0git (https://github.com/RadeonOpenCompute/llvm-project roc-6.4.0 25133 c7fe45cf4b819c5991fe208aaa96edf142730f1d)"
	.section	".note.GNU-stack","",@progbits
	.addrsig
	.addrsig_sym __hip_cuid_d5072f497e87958a
	.amdgpu_metadata
---
amdhsa.kernels:
  - .args:
      - .actual_access:  read_only
        .address_space:  global
        .offset:         0
        .size:           8
        .value_kind:     global_buffer
      - .offset:         8
        .size:           8
        .value_kind:     by_value
      - .actual_access:  read_only
        .address_space:  global
        .offset:         16
        .size:           8
        .value_kind:     global_buffer
      - .actual_access:  read_only
        .address_space:  global
        .offset:         24
        .size:           8
        .value_kind:     global_buffer
      - .actual_access:  read_only
        .address_space:  global
        .offset:         32
        .size:           8
        .value_kind:     global_buffer
      - .offset:         40
        .size:           8
        .value_kind:     by_value
      - .actual_access:  read_only
        .address_space:  global
        .offset:         48
        .size:           8
        .value_kind:     global_buffer
      - .actual_access:  read_only
        .address_space:  global
        .offset:         56
        .size:           8
        .value_kind:     global_buffer
      - .offset:         64
        .size:           4
        .value_kind:     by_value
      - .actual_access:  read_only
        .address_space:  global
        .offset:         72
        .size:           8
        .value_kind:     global_buffer
      - .actual_access:  read_only
        .address_space:  global
        .offset:         80
        .size:           8
        .value_kind:     global_buffer
      - .actual_access:  read_only
        .address_space:  global
        .offset:         88
        .size:           8
        .value_kind:     global_buffer
      - .actual_access:  write_only
        .address_space:  global
        .offset:         96
        .size:           8
        .value_kind:     global_buffer
    .group_segment_fixed_size: 0
    .kernarg_segment_align: 8
    .kernarg_segment_size: 104
    .language:       OpenCL C
    .language_version:
      - 2
      - 0
    .max_flat_workgroup_size: 135
    .name:           fft_rtc_back_len1350_factors_5_10_3_3_3_wgs_135_tpt_135_halfLds_sp_op_CI_CI_sbrr_dirReg
    .private_segment_fixed_size: 0
    .sgpr_count:     45
    .sgpr_spill_count: 0
    .symbol:         fft_rtc_back_len1350_factors_5_10_3_3_3_wgs_135_tpt_135_halfLds_sp_op_CI_CI_sbrr_dirReg.kd
    .uniform_work_group_size: 1
    .uses_dynamic_stack: false
    .vgpr_count:     71
    .vgpr_spill_count: 0
    .wavefront_size: 32
    .workgroup_processor_mode: 1
amdhsa.target:   amdgcn-amd-amdhsa--gfx1201
amdhsa.version:
  - 1
  - 2
...

	.end_amdgpu_metadata
